;; amdgpu-corpus repo=ROCm/rocFFT kind=compiled arch=gfx950 opt=O3
	.text
	.amdgcn_target "amdgcn-amd-amdhsa--gfx950"
	.amdhsa_code_object_version 6
	.protected	bluestein_single_fwd_len605_dim1_sp_op_CI_CI ; -- Begin function bluestein_single_fwd_len605_dim1_sp_op_CI_CI
	.globl	bluestein_single_fwd_len605_dim1_sp_op_CI_CI
	.p2align	8
	.type	bluestein_single_fwd_len605_dim1_sp_op_CI_CI,@function
bluestein_single_fwd_len605_dim1_sp_op_CI_CI: ; @bluestein_single_fwd_len605_dim1_sp_op_CI_CI
; %bb.0:
	s_load_dwordx4 s[12:15], s[0:1], 0x28
	v_mul_u32_u24_e32 v1, 0x4a8, v0
	v_add_u32_sdwa v82, s2, v1 dst_sel:DWORD dst_unused:UNUSED_PAD src0_sel:DWORD src1_sel:WORD_1
	v_mov_b32_e32 v83, 0
	s_waitcnt lgkmcnt(0)
	v_cmp_gt_u64_e32 vcc, s[12:13], v[82:83]
	s_and_saveexec_b64 s[2:3], vcc
	s_cbranch_execz .LBB0_10
; %bb.1:
	s_load_dwordx4 s[4:7], s[0:1], 0x18
	s_load_dwordx4 s[8:11], s[0:1], 0x0
	v_mov_b32_e32 v2, s14
	v_mov_b32_e32 v3, s15
	;; [unrolled: 1-line block ×3, first 2 shown]
	s_waitcnt lgkmcnt(0)
	s_load_dwordx4 s[12:15], s[4:5], 0x0
	v_mul_lo_u16_sdwa v1, v1, v4 dst_sel:DWORD dst_unused:UNUSED_PAD src0_sel:WORD_1 src1_sel:DWORD
	v_sub_u16_e32 v86, v0, v1
	v_mov_b32_e32 v24, 0x1b8
	v_lshlrev_b32_e32 v72, 3, v86
	s_waitcnt lgkmcnt(0)
	v_mad_u64_u32 v[0:1], s[2:3], s14, v82, 0
	v_mov_b32_e32 v4, v1
	v_mad_u64_u32 v[4:5], s[2:3], s15, v82, v[4:5]
	v_mov_b32_e32 v1, v4
	v_mad_u64_u32 v[4:5], s[2:3], s12, v86, 0
	v_mov_b32_e32 v6, v5
	v_mad_u64_u32 v[6:7], s[2:3], s13, v86, v[6:7]
	v_mov_b32_e32 v5, v6
	v_lshl_add_u64 v[0:1], v[0:1], 3, v[2:3]
	v_lshl_add_u64 v[0:1], v[4:5], 3, v[0:1]
	global_load_dwordx2 v[2:3], v[0:1], off
	v_mad_u64_u32 v[0:1], s[2:3], s12, v24, v[0:1]
	s_mul_i32 s4, s13, 0x1b8
	v_add_u32_e32 v1, s4, v1
	global_load_dwordx2 v[6:7], v[0:1], off
	v_mad_u64_u32 v[0:1], s[2:3], s12, v24, v[0:1]
	v_add_u32_e32 v1, s4, v1
	v_mad_u64_u32 v[8:9], s[2:3], s12, v24, v[0:1]
	v_add_u32_e32 v9, s4, v9
	;; [unrolled: 2-line block ×3, first 2 shown]
	global_load_dwordx2 v[98:99], v72, s[8:9]
	global_load_dwordx2 v[96:97], v72, s[8:9] offset:440
	global_load_dwordx2 v[92:93], v72, s[8:9] offset:880
	;; [unrolled: 1-line block ×3, first 2 shown]
	global_load_dwordx2 v[12:13], v[0:1], off
	global_load_dwordx2 v[14:15], v[8:9], off
	;; [unrolled: 1-line block ×3, first 2 shown]
	v_mad_u64_u32 v[0:1], s[2:3], s12, v24, v[10:11]
	v_add_u32_e32 v1, s4, v1
	global_load_dwordx2 v[8:9], v[0:1], off
	v_mad_u64_u32 v[0:1], s[2:3], s12, v24, v[0:1]
	v_add_u32_e32 v1, s4, v1
	global_load_dwordx2 v[94:95], v72, s[8:9] offset:1760
	global_load_dwordx2 v[10:11], v[0:1], off
	global_load_dwordx2 v[90:91], v72, s[8:9] offset:2200
	v_mad_u64_u32 v[0:1], s[2:3], s12, v24, v[0:1]
	v_add_u32_e32 v1, s4, v1
	global_load_dwordx2 v[18:19], v[0:1], off
	global_load_dwordx2 v[84:85], v72, s[8:9] offset:2640
	global_load_dwordx2 v[78:79], v72, s[8:9] offset:3080
	v_mad_u64_u32 v[0:1], s[2:3], s12, v24, v[0:1]
	v_add_u32_e32 v1, s4, v1
	global_load_dwordx2 v[20:21], v[0:1], off
	v_mad_u64_u32 v[0:1], s[2:3], s12, v24, v[0:1]
	v_add_u32_e32 v1, s4, v1
	v_mov_b32_e32 v73, v83
	global_load_dwordx2 v[22:23], v[0:1], off
	global_load_dwordx2 v[80:81], v72, s[8:9] offset:3520
	global_load_dwordx2 v[76:77], v72, s[8:9] offset:3960
	v_mad_u64_u32 v[0:1], s[2:3], s12, v24, v[0:1]
	v_lshl_add_u64 v[4:5], s[8:9], 0, v[72:73]
	s_movk_i32 s2, 0x1000
	v_add_co_u32_e32 v4, vcc, s2, v4
	v_add_u32_e32 v1, s4, v1
	s_nop 0
	v_addc_co_u32_e32 v5, vcc, 0, v5, vcc
	global_load_dwordx2 v[74:75], v[4:5], off offset:304
	global_load_dwordx2 v[24:25], v[0:1], off
	v_add_u32_e32 v52, 0x400, v72
	v_add_u32_e32 v53, 0x800, v72
	s_load_dwordx4 s[4:7], s[6:7], 0x0
	s_mov_b32 s14, 0xbf0a6770
	s_mov_b32 s2, 0xbf68dda4
	;; [unrolled: 1-line block ×16, first 2 shown]
	v_cmp_gt_u16_e32 vcc, 11, v86
	s_waitcnt vmcnt(19)
	v_mul_f32_e32 v0, v3, v99
	v_mul_f32_e32 v1, v2, v99
	v_fmac_f32_e32 v0, v2, v98
	v_fma_f32 v1, v3, v98, -v1
	s_waitcnt vmcnt(18)
	v_mul_f32_e32 v2, v7, v97
	v_mul_f32_e32 v3, v6, v97
	v_fmac_f32_e32 v2, v6, v96
	v_fma_f32 v3, v7, v96, -v3
	ds_write2_b64 v72, v[0:1], v[2:3] offset1:55
	s_waitcnt vmcnt(15)
	v_mul_f32_e32 v0, v13, v93
	v_mul_f32_e32 v1, v12, v93
	s_waitcnt vmcnt(14)
	v_mul_f32_e32 v2, v15, v89
	v_mul_f32_e32 v3, v14, v89
	v_fmac_f32_e32 v0, v12, v92
	v_fma_f32 v1, v13, v92, -v1
	v_fmac_f32_e32 v2, v14, v88
	v_fma_f32 v3, v15, v88, -v3
	ds_write2_b64 v72, v[0:1], v[2:3] offset0:110 offset1:165
	s_waitcnt vmcnt(11)
	v_mul_f32_e32 v0, v17, v95
	v_mul_f32_e32 v1, v16, v95
	s_waitcnt vmcnt(9)
	v_mul_f32_e32 v2, v9, v91
	v_mul_f32_e32 v3, v8, v91
	v_fmac_f32_e32 v0, v16, v94
	v_fma_f32 v1, v17, v94, -v1
	v_fmac_f32_e32 v2, v8, v90
	v_fma_f32 v3, v9, v90, -v3
	ds_write2_b64 v52, v[0:1], v[2:3] offset0:92 offset1:147
	;; [unrolled: 11-line block ×4, first 2 shown]
	s_waitcnt vmcnt(0)
	v_mul_f32_e32 v0, v25, v75
	v_mul_f32_e32 v1, v24, v75
	v_fmac_f32_e32 v0, v24, v74
	v_fma_f32 v1, v25, v74, -v1
	ds_write_b64 v72, v[0:1] offset:4400
	s_waitcnt lgkmcnt(0)
	; wave barrier
	s_waitcnt lgkmcnt(0)
	ds_read2_b64 v[10:13], v52 offset0:92 offset1:147
	ds_read2_b64 v[14:17], v53 offset0:74 offset1:129
	ds_read2_b64 v[0:3], v72 offset1:55
	ds_read2_b64 v[22:25], v72 offset0:110 offset1:165
	ds_read2_b64 v[34:37], v53 offset0:184 offset1:239
	s_waitcnt lgkmcnt(3)
	v_pk_add_f32 v[4:5], v[16:17], v[10:11]
	s_waitcnt lgkmcnt(2)
	v_pk_add_f32 v[6:7], v[0:1], v[2:3]
	v_pk_add_f32 v[8:9], v[10:11], v[16:17] neg_lo:[0,1] neg_hi:[0,1]
	s_waitcnt lgkmcnt(1)
	v_pk_add_f32 v[6:7], v[6:7], v[22:23]
	v_pk_add_f32 v[20:21], v[14:15], v[12:13]
	;; [unrolled: 1-line block ×3, first 2 shown]
	v_pk_add_f32 v[26:27], v[12:13], v[14:15] neg_lo:[0,1] neg_hi:[0,1]
	v_pk_add_f32 v[6:7], v[6:7], v[10:11]
	ds_read_b64 v[10:11], v72 offset:4400
	v_pk_add_f32 v[6:7], v[6:7], v[12:13]
	s_waitcnt lgkmcnt(1)
	v_pk_add_f32 v[18:19], v[36:37], v[22:23]
	v_pk_add_f32 v[6:7], v[6:7], v[14:15]
	v_pk_add_f32 v[22:23], v[22:23], v[36:37] neg_lo:[0,1] neg_hi:[0,1]
	v_pk_add_f32 v[6:7], v[6:7], v[16:17]
	s_waitcnt lgkmcnt(0)
	v_pk_add_f32 v[38:39], v[10:11], v[2:3]
	v_pk_add_f32 v[6:7], v[6:7], v[34:35]
	v_pk_add_f32 v[12:13], v[2:3], v[10:11] neg_lo:[0,1] neg_hi:[0,1]
	v_pk_add_f32 v[6:7], v[6:7], v[36:37]
	v_mov_b32_e32 v3, v39
	v_pk_add_f32 v[36:37], v[6:7], v[10:11]
	v_pk_mul_f32 v[10:11], v[22:23], s[2:3] op_sel:[1,0] op_sel_hi:[0,0]
	v_mov_b32_e32 v39, v12
	v_mov_b32_e32 v2, v13
	v_pk_fma_f32 v[6:7], v[18:19], s[18:19], v[10:11] op_sel_hi:[1,0,1]
	v_pk_fma_f32 v[16:17], v[18:19], s[18:19], v[10:11] op_sel_hi:[1,0,1] neg_lo:[0,0,1] neg_hi:[0,0,1]
	v_pk_mul_f32 v[10:11], v[38:39], s[12:13]
	v_pk_add_f32 v[32:33], v[24:25], v[34:35] neg_lo:[0,1] neg_hi:[0,1]
	v_pk_fma_f32 v[14:15], v[2:3], s[14:15], v[10:11] neg_lo:[1,0,0] neg_hi:[1,0,0]
	v_pk_fma_f32 v[12:13], v[2:3], s[14:15], v[10:11]
	v_pk_add_f32 v[28:29], v[34:35], v[24:25]
	v_mov_b32_e32 v15, v13
	v_pk_add_f32 v[24:25], v[0:1], v[14:15]
	v_mov_b32_e32 v15, v17
	v_mov_b32_e32 v17, v7
	v_pk_mul_f32 v[30:31], v[32:33], s[16:17] op_sel_hi:[1,0]
	v_pk_add_f32 v[16:17], v[16:17], v[24:25]
	v_pk_fma_f32 v[24:25], v[28:29], s[26:27], v[30:31] op_sel:[0,0,1] op_sel_hi:[1,0,0]
	v_pk_fma_f32 v[30:31], v[28:29], s[26:27], v[30:31] op_sel:[0,0,1] op_sel_hi:[1,0,0] neg_lo:[0,0,1] neg_hi:[0,0,1]
	s_mov_b32 s12, 0xbf4178ce
	v_mov_b32_e32 v7, v31
	v_mov_b32_e32 v31, v25
	v_pk_add_f32 v[34:35], v[30:31], v[16:17]
	v_pk_mul_f32 v[30:31], v[8:9], s[12:13] op_sel_hi:[1,0]
	v_pk_mul_f32 v[42:43], v[26:27], s[20:21] op_sel_hi:[1,0]
	v_pk_fma_f32 v[16:17], v[4:5], s[24:25], v[30:31] op_sel:[0,0,1] op_sel_hi:[1,0,0]
	v_pk_fma_f32 v[40:41], v[4:5], s[24:25], v[30:31] op_sel:[0,0,1] op_sel_hi:[1,0,0] neg_lo:[0,0,1] neg_hi:[0,0,1]
	v_mul_lo_u16_e32 v13, 11, v86
	v_mov_b32_e32 v31, v41
	v_mov_b32_e32 v41, v17
	v_pk_add_f32 v[40:41], v[40:41], v[34:35]
	v_pk_fma_f32 v[34:35], v[20:21], s[28:29], v[42:43] op_sel:[0,0,1] op_sel_hi:[1,0,0]
	v_pk_fma_f32 v[42:43], v[20:21], s[28:29], v[42:43] op_sel:[0,0,1] op_sel_hi:[1,0,0] neg_lo:[0,0,1] neg_hi:[0,0,1]
	v_lshlrev_b32_e32 v83, 3, v13
	v_mov_b32_e32 v17, v43
	v_mov_b32_e32 v43, v35
	v_pk_add_f32 v[40:41], v[42:43], v[40:41]
	s_mov_b32 s19, s2
	s_waitcnt lgkmcnt(0)
	; wave barrier
	ds_write2_b64 v83, v[36:37], v[40:41] offset1:1
	s_mov_b32 s3, s18
	v_pk_mul_f32 v[40:41], v[38:39], s[18:19]
	v_mov_b32_e32 v43, v19
	v_mov_b32_e32 v19, v22
	s_mov_b32 s25, s12
	v_pk_fma_f32 v[48:49], v[2:3], s[2:3], v[40:41] neg_lo:[1,0,0] neg_hi:[1,0,0]
	v_pk_fma_f32 v[36:37], v[2:3], s[2:3], v[40:41]
	v_mov_b32_e32 v42, v23
	s_mov_b32 s13, s24
	v_pk_mul_f32 v[46:47], v[18:19], s[24:25]
	v_mov_b32_e32 v49, v37
	v_pk_fma_f32 v[50:51], v[22:23], s[12:13], v[46:47] op_sel:[1,0,0] op_sel_hi:[0,1,1] neg_lo:[1,0,0] neg_hi:[1,0,0]
	v_pk_fma_f32 v[44:45], v[42:43], s[12:13], v[46:47]
	v_pk_add_f32 v[48:49], v[0:1], v[48:49]
	v_mov_b32_e32 v51, v45
	v_pk_add_f32 v[54:55], v[50:51], v[48:49]
	v_pk_mul_f32 v[50:51], v[32:33], s[22:23] op_sel_hi:[1,0]
	s_mov_b32 s17, s26
	v_pk_fma_f32 v[48:49], v[28:29], s[28:29], v[50:51] op_sel:[0,0,1] op_sel_hi:[1,0,0] neg_lo:[0,0,1] neg_hi:[0,0,1]
	v_pk_fma_f32 v[50:51], v[28:29], s[28:29], v[50:51] op_sel:[0,0,1] op_sel_hi:[1,0,0]
	v_mov_b32_e32 v56, v48
	v_mov_b32_e32 v57, v51
	v_pk_add_f32 v[54:55], v[56:57], v[54:55]
	v_pk_mul_f32 v[56:57], v[8:9], s[30:31] op_sel_hi:[1,0]
	s_mov_b32 s29, s22
	v_pk_fma_f32 v[58:59], v[4:5], s[26:27], v[56:57] op_sel:[0,0,1] op_sel_hi:[1,0,0] neg_lo:[0,0,1] neg_hi:[0,0,1]
	v_pk_fma_f32 v[56:57], v[4:5], s[26:27], v[56:57] op_sel:[0,0,1] op_sel_hi:[1,0,0]
	v_mov_b32_e32 v60, v58
	;; [unrolled: 7-line block ×3, first 2 shown]
	v_mov_b32_e32 v65, v61
	v_pk_add_f32 v[54:55], v[64:65], v[54:55]
	v_pk_mul_f32 v[64:65], v[38:39], s[26:27]
	s_mov_b32 s23, s28
	v_pk_fma_f32 v[66:67], v[2:3], s[16:17], v[64:65] neg_lo:[1,0,0] neg_hi:[1,0,0]
	v_pk_fma_f32 v[68:69], v[2:3], s[16:17], v[64:65]
	v_pk_mul_f32 v[70:71], v[18:19], s[28:29]
	v_mov_b32_e32 v67, v69
	v_pk_fma_f32 v[100:101], v[22:23], s[22:23], v[70:71] op_sel:[1,0,0] op_sel_hi:[0,1,1] neg_lo:[1,0,0] neg_hi:[1,0,0]
	v_pk_fma_f32 v[102:103], v[42:43], s[22:23], v[70:71]
	v_pk_add_f32 v[66:67], v[0:1], v[66:67]
	v_mov_b32_e32 v101, v103
	v_pk_add_f32 v[66:67], v[100:101], v[66:67]
	v_pk_mul_f32 v[100:101], v[32:33], s[38:39] op_sel_hi:[1,0]
	s_mov_b32 s27, s30
	v_pk_fma_f32 v[104:105], v[28:29], s[18:19], v[100:101] op_sel:[0,0,1] op_sel_hi:[1,0,0] neg_lo:[0,0,1] neg_hi:[0,0,1]
	v_pk_fma_f32 v[100:101], v[28:29], s[18:19], v[100:101] op_sel:[0,0,1] op_sel_hi:[1,0,0]
	v_mov_b32_e32 v106, v104
	v_mov_b32_e32 v107, v101
	v_pk_add_f32 v[66:67], v[106:107], v[66:67]
	v_pk_mul_f32 v[106:107], v[8:9], s[14:15] op_sel_hi:[1,0]
	s_mov_b32 s31, s26
	v_pk_fma_f32 v[108:109], v[4:5], s[36:37], v[106:107] op_sel:[0,0,1] op_sel_hi:[1,0,0] neg_lo:[0,0,1] neg_hi:[0,0,1]
	v_pk_fma_f32 v[106:107], v[4:5], s[36:37], v[106:107] op_sel:[0,0,1] op_sel_hi:[1,0,0]
	v_mov_b32_e32 v110, v108
	v_mov_b32_e32 v111, v107
	v_pk_add_f32 v[66:67], v[110:111], v[66:67]
	v_pk_mul_f32 v[110:111], v[26:27], s[12:13] op_sel_hi:[1,0]
	v_pk_mul_f32 v[116:117], v[18:19], s[26:27]
	v_pk_fma_f32 v[112:113], v[20:21], s[24:25], v[110:111] op_sel:[0,0,1] op_sel_hi:[1,0,0] neg_lo:[0,0,1] neg_hi:[0,0,1]
	v_pk_fma_f32 v[110:111], v[20:21], s[24:25], v[110:111] op_sel:[0,0,1] op_sel_hi:[1,0,0]
	v_mov_b32_e32 v114, v112
	v_mov_b32_e32 v115, v111
	v_pk_add_f32 v[66:67], v[114:115], v[66:67]
	ds_write2_b64 v83, v[54:55], v[66:67] offset0:2 offset1:3
	v_pk_mul_f32 v[54:55], v[38:39], s[24:25]
	v_pk_fma_f32 v[118:119], v[22:23], s[30:31], v[116:117] op_sel:[1,0,0] op_sel_hi:[0,1,1] neg_lo:[1,0,0] neg_hi:[1,0,0]
	v_pk_fma_f32 v[66:67], v[2:3], s[12:13], v[54:55] neg_lo:[1,0,0] neg_hi:[1,0,0]
	v_pk_fma_f32 v[114:115], v[2:3], s[12:13], v[54:55]
	v_pk_fma_f32 v[120:121], v[42:43], s[30:31], v[116:117]
	v_mov_b32_e32 v67, v115
	v_mov_b32_e32 v119, v121
	v_pk_add_f32 v[66:67], v[0:1], v[66:67]
	s_mov_b32 s35, s15
	v_pk_add_f32 v[66:67], v[118:119], v[66:67]
	v_pk_mul_f32 v[118:119], v[32:33], s[14:15] op_sel_hi:[1,0]
	v_pk_mul_f32 v[32:33], v[32:33], s[12:13] op_sel_hi:[1,0]
	v_pk_fma_f32 v[122:123], v[28:29], s[36:37], v[118:119] op_sel:[0,0,1] op_sel_hi:[1,0,0] neg_lo:[0,0,1] neg_hi:[0,0,1]
	v_pk_fma_f32 v[118:119], v[28:29], s[36:37], v[118:119] op_sel:[0,0,1] op_sel_hi:[1,0,0]
	v_mov_b32_e32 v124, v122
	v_mov_b32_e32 v125, v119
	v_pk_add_f32 v[66:67], v[124:125], v[66:67]
	v_pk_mul_f32 v[124:125], v[8:9], s[20:21] op_sel_hi:[1,0]
	v_pk_mul_f32 v[8:9], v[8:9], s[38:39] op_sel_hi:[1,0]
	v_pk_fma_f32 v[126:127], v[4:5], s[28:29], v[124:125] op_sel:[0,0,1] op_sel_hi:[1,0,0] neg_lo:[0,0,1] neg_hi:[0,0,1]
	v_pk_fma_f32 v[124:125], v[4:5], s[28:29], v[124:125] op_sel:[0,0,1] op_sel_hi:[1,0,0]
	v_mov_b32_e32 v128, v126
	v_mov_b32_e32 v129, v125
	v_pk_add_f32 v[66:67], v[128:129], v[66:67]
	v_pk_mul_f32 v[128:129], v[26:27], s[38:39] op_sel_hi:[1,0]
	s_mov_b32 s29, s20
	v_pk_fma_f32 v[130:131], v[20:21], s[18:19], v[128:129] op_sel:[0,0,1] op_sel_hi:[1,0,0] neg_lo:[0,0,1] neg_hi:[0,0,1]
	v_pk_fma_f32 v[128:129], v[20:21], s[18:19], v[128:129] op_sel:[0,0,1] op_sel_hi:[1,0,0]
	v_mov_b32_e32 v132, v130
	v_mov_b32_e32 v133, v129
	v_pk_add_f32 v[66:67], v[132:133], v[66:67]
	v_pk_fma_f32 v[132:133], v[4:5], s[18:19], v[8:9] op_sel:[0,0,1] op_sel_hi:[1,0,0] neg_lo:[0,0,1] neg_hi:[0,0,1]
	v_pk_fma_f32 v[4:5], v[4:5], s[18:19], v[8:9] op_sel:[0,0,1] op_sel_hi:[1,0,0]
	v_pk_mul_f32 v[8:9], v[26:27], s[16:17] op_sel_hi:[1,0]
	s_mov_b32 s21, s28
	v_pk_fma_f32 v[26:27], v[20:21], s[26:27], v[8:9] op_sel:[0,0,1] op_sel_hi:[1,0,0] neg_lo:[0,0,1] neg_hi:[0,0,1]
	v_pk_fma_f32 v[8:9], v[20:21], s[26:27], v[8:9] op_sel:[0,0,1] op_sel_hi:[1,0,0]
	v_pk_mul_f32 v[20:21], v[38:39], s[28:29]
	s_mov_b32 s18, s15
	s_mov_b32 s19, s34
	v_pk_fma_f32 v[38:39], v[2:3], s[20:21], v[20:21] neg_lo:[1,0,0] neg_hi:[1,0,0]
	v_pk_fma_f32 v[134:135], v[2:3], s[20:21], v[20:21]
	v_pk_mul_f32 v[18:19], v[18:19], s[18:19]
	v_mov_b32_e32 v39, v135
	v_pk_fma_f32 v[22:23], v[22:23], s[34:35], v[18:19] op_sel:[1,0,0] op_sel_hi:[0,1,1] neg_lo:[1,0,0] neg_hi:[1,0,0]
	v_pk_fma_f32 v[136:137], v[42:43], s[34:35], v[18:19]
	v_pk_fma_f32 v[20:21], v[2:3], s[20:21], v[20:21] neg_lo:[0,0,1] neg_hi:[0,0,1]
	v_mov_b32_e32 v23, v137
	v_pk_add_f32 v[38:39], v[0:1], v[38:39]
	v_mov_b32_e32 v135, v21
	v_pk_fma_f32 v[18:19], v[42:43], s[34:35], v[18:19] neg_lo:[0,0,1] neg_hi:[0,0,1]
	v_pk_add_f32 v[22:23], v[22:23], v[38:39]
	v_pk_fma_f32 v[38:39], v[28:29], s[24:25], v[32:33] op_sel:[0,0,1] op_sel_hi:[1,0,0] neg_lo:[0,0,1] neg_hi:[0,0,1]
	v_pk_fma_f32 v[28:29], v[28:29], s[24:25], v[32:33] op_sel:[0,0,1] op_sel_hi:[1,0,0]
	v_mov_b32_e32 v137, v19
	v_pk_add_f32 v[18:19], v[0:1], v[134:135]
	v_mov_b32_e32 v32, v38
	v_mov_b32_e32 v33, v29
	v_pk_add_f32 v[18:19], v[136:137], v[18:19]
	v_mov_b32_e32 v29, v39
	v_pk_add_f32 v[22:23], v[32:33], v[22:23]
	v_mov_b32_e32 v32, v132
	v_mov_b32_e32 v33, v5
	v_mov_b32_e32 v5, v133
	v_pk_add_f32 v[18:19], v[28:29], v[18:19]
	v_pk_add_f32 v[22:23], v[32:33], v[22:23]
	v_mov_b32_e32 v33, v9
	v_mov_b32_e32 v9, v27
	v_pk_add_f32 v[4:5], v[4:5], v[18:19]
	v_mov_b32_e32 v119, v123
	v_pk_add_f32 v[4:5], v[8:9], v[4:5]
	v_pk_fma_f32 v[8:9], v[2:3], s[12:13], v[54:55] neg_lo:[0,0,1] neg_hi:[0,0,1]
	v_mov_b32_e32 v125, v127
	v_mov_b32_e32 v115, v9
	v_pk_fma_f32 v[8:9], v[42:43], s[30:31], v[116:117] neg_lo:[0,0,1] neg_hi:[0,0,1]
	v_mov_b32_e32 v129, v131
	v_mov_b32_e32 v121, v9
	v_pk_add_f32 v[8:9], v[0:1], v[114:115]
	v_mov_b32_e32 v14, v6
	v_pk_add_f32 v[8:9], v[120:121], v[8:9]
	;; [unrolled: 2-line block ×5, first 2 shown]
	ds_write2_b64 v83, v[4:5], v[8:9] offset0:6 offset1:7
	v_pk_fma_f32 v[4:5], v[2:3], s[14:15], v[10:11] neg_lo:[0,0,1] neg_hi:[0,0,1]
	v_mov_b32_e32 v107, v109
	v_mov_b32_e32 v13, v5
	v_pk_add_f32 v[4:5], v[0:1], v[12:13]
	v_mov_b32_e32 v57, v59
	v_pk_add_f32 v[4:5], v[14:15], v[4:5]
	v_mov_b32_e32 v32, v26
	v_pk_add_f32 v[4:5], v[6:7], v[4:5]
	v_pk_fma_f32 v[6:7], v[2:3], s[16:17], v[64:65] neg_lo:[0,0,1] neg_hi:[0,0,1]
	v_pk_fma_f32 v[2:3], v[2:3], s[2:3], v[40:41] neg_lo:[0,0,1] neg_hi:[0,0,1]
	v_mov_b32_e32 v69, v7
	v_pk_fma_f32 v[6:7], v[42:43], s[22:23], v[70:71] neg_lo:[0,0,1] neg_hi:[0,0,1]
	v_mov_b32_e32 v37, v3
	;; [unrolled: 2-line block ×3, first 2 shown]
	v_pk_add_f32 v[6:7], v[0:1], v[68:69]
	v_mov_b32_e32 v45, v3
	v_pk_add_f32 v[0:1], v[0:1], v[36:37]
	v_pk_add_f32 v[6:7], v[102:103], v[6:7]
	;; [unrolled: 1-line block ×5, first 2 shown]
	v_mov_b32_e32 v30, v16
	v_mov_b32_e32 v111, v113
	v_pk_add_f32 v[6:7], v[106:107], v[6:7]
	v_mov_b32_e32 v61, v63
	v_pk_add_f32 v[0:1], v[56:57], v[0:1]
	v_pk_add_f32 v[22:23], v[32:33], v[22:23]
	v_mov_b32_e32 v16, v34
	v_pk_add_f32 v[4:5], v[30:31], v[4:5]
	v_pk_add_f32 v[6:7], v[110:111], v[6:7]
	;; [unrolled: 1-line block ×3, first 2 shown]
	ds_write2_b64 v83, v[66:67], v[22:23] offset0:4 offset1:5
	v_pk_add_f32 v[20:21], v[16:17], v[4:5]
	ds_write2_b64 v83, v[6:7], v[0:1] offset0:8 offset1:9
	ds_write_b64 v83, v[20:21] offset:80
	s_waitcnt lgkmcnt(0)
	; wave barrier
	s_waitcnt lgkmcnt(0)
	ds_read2_b64 v[32:35], v72 offset1:55
	ds_read2_b64 v[44:47], v72 offset0:121 offset1:176
	ds_read2_b64 v[40:43], v52 offset0:114 offset1:169
	v_add_u32_e32 v0, 0xc00, v72
	s_load_dwordx2 s[2:3], s[0:1], 0x38
	ds_read2_b64 v[36:39], v0 offset0:100 offset1:155
	ds_read2_b64 v[48:51], v53 offset0:107 offset1:162
                                        ; implicit-def: $vgpr54
                                        ; implicit-def: $vgpr56
                                        ; implicit-def: $vgpr58
                                        ; implicit-def: $vgpr52
                                        ; implicit-def: $vgpr60
                                        ; implicit-def: $vgpr28
	s_and_saveexec_b64 s[0:1], vcc
	s_cbranch_execz .LBB0_3
; %bb.2:
	ds_read2_b64 v[20:23], v72 offset0:110 offset1:231
	ds_read2_b64 v[28:31], v53 offset0:96 offset1:217
	ds_read_b64 v[52:53], v72 offset:4752
	s_waitcnt lgkmcnt(0)
	v_mov_b32_e32 v54, v23
	v_mov_b32_e32 v56, v29
	;; [unrolled: 1-line block ×4, first 2 shown]
.LBB0_3:
	s_or_b64 exec, exec, s[0:1]
	s_movk_i32 s0, 0x75
	v_mul_lo_u16_sdwa v0, v86, s0 dst_sel:DWORD dst_unused:UNUSED_PAD src0_sel:BYTE_0 src1_sel:DWORD
	v_sub_u16_sdwa v1, v86, v0 dst_sel:DWORD dst_unused:UNUSED_PAD src0_sel:DWORD src1_sel:BYTE_1
	v_lshrrev_b16_e32 v1, 1, v1
	v_and_b32_e32 v1, 0x7f, v1
	v_add_u16_sdwa v0, v1, v0 dst_sel:DWORD dst_unused:UNUSED_PAD src0_sel:DWORD src1_sel:BYTE_1
	v_lshrrev_b16_e32 v23, 3, v0
	v_mul_lo_u16_e32 v0, 11, v23
	v_sub_u16_e32 v0, v86, v0
	v_and_b32_e32 v29, 0xff, v0
	v_lshlrev_b32_e32 v0, 5, v29
	global_load_dwordx4 v[16:19], v0, s[10:11] offset:16
	global_load_dwordx4 v[24:27], v0, s[10:11]
	v_add_u16_e32 v0, 55, v86
	v_mul_lo_u16_sdwa v1, v0, s0 dst_sel:DWORD dst_unused:UNUSED_PAD src0_sel:BYTE_0 src1_sel:DWORD
	v_sub_u16_sdwa v2, v0, v1 dst_sel:DWORD dst_unused:UNUSED_PAD src0_sel:DWORD src1_sel:BYTE_1
	v_lshrrev_b16_e32 v2, 1, v2
	v_and_b32_e32 v2, 0x7f, v2
	v_add_u16_sdwa v1, v2, v1 dst_sel:DWORD dst_unused:UNUSED_PAD src0_sel:DWORD src1_sel:BYTE_1
	v_lshrrev_b16_e32 v73, 3, v1
	v_mul_lo_u16_e32 v1, 11, v73
	v_sub_u16_e32 v0, v0, v1
	v_and_b32_e32 v103, 0xff, v0
	v_lshlrev_b32_e32 v0, 5, v103
	global_load_dwordx4 v[8:11], v0, s[10:11] offset:16
	global_load_dwordx4 v[12:15], v0, s[10:11]
	v_add_u16_e32 v0, 0x6e, v86
	v_mul_lo_u16_sdwa v1, v0, s0 dst_sel:DWORD dst_unused:UNUSED_PAD src0_sel:BYTE_0 src1_sel:DWORD
	v_sub_u16_sdwa v2, v0, v1 dst_sel:DWORD dst_unused:UNUSED_PAD src0_sel:DWORD src1_sel:BYTE_1
	v_lshrrev_b16_e32 v2, 1, v2
	v_and_b32_e32 v2, 0x7f, v2
	v_add_u16_sdwa v1, v2, v1 dst_sel:DWORD dst_unused:UNUSED_PAD src0_sel:DWORD src1_sel:BYTE_1
	v_lshrrev_b16_e32 v1, 3, v1
	v_mul_lo_u16_e32 v1, 11, v1
	v_sub_u16_e32 v87, v0, v1
	v_lshlrev_b16_e32 v0, 2, v87
	v_and_b32_e32 v0, 0xfc, v0
	v_lshlrev_b32_e32 v31, 3, v0
	global_load_dwordx4 v[4:7], v31, s[10:11]
	global_load_dwordx4 v[0:3], v31, s[10:11] offset:16
	v_mul_u32_u24_e32 v23, 55, v23
	v_add_lshl_u32 v144, v23, v29, 3
	s_mov_b32 s12, 0x3f737871
	s_mov_b32 s14, 0x3f167918
	;; [unrolled: 1-line block ×3, first 2 shown]
	s_waitcnt lgkmcnt(0)
	; wave barrier
	s_waitcnt vmcnt(5) lgkmcnt(0)
	v_mov_b32_e32 v102, v19
	s_waitcnt vmcnt(4)
	v_mov_b32_e32 v110, v27
	v_mov_b32_e32 v108, v17
	;; [unrolled: 1-line block ×3, first 2 shown]
	s_waitcnt vmcnt(3)
	v_mov_b32_e32 v104, v11
	s_waitcnt vmcnt(2)
	v_mov_b32_e32 v112, v15
	v_mov_b32_e32 v106, v9
	;; [unrolled: 1-line block ×3, first 2 shown]
	s_waitcnt vmcnt(1)
	v_pk_mul_f32 v[64:65], v[56:57], v[6:7] op_sel_hi:[0,1]
	s_waitcnt vmcnt(0)
	v_pk_mul_f32 v[66:67], v[58:59], v[0:1] op_sel_hi:[0,1]
	v_pk_mul_f32 v[62:63], v[54:55], v[4:5] op_sel_hi:[0,1]
	;; [unrolled: 1-line block ×3, first 2 shown]
	v_pk_fma_f32 v[56:57], v[28:29], v[6:7], v[64:65] op_sel:[0,0,1] op_sel_hi:[1,1,0] neg_lo:[0,0,1] neg_hi:[0,0,1]
	v_pk_fma_f32 v[28:29], v[28:29], v[6:7], v[64:65] op_sel:[0,0,1] op_sel_hi:[0,1,0]
	v_pk_fma_f32 v[58:59], v[30:31], v[0:1], v[66:67] op_sel:[0,0,1] op_sel_hi:[1,1,0] neg_lo:[0,0,1] neg_hi:[0,0,1]
	v_pk_fma_f32 v[30:31], v[30:31], v[0:1], v[66:67] op_sel:[0,0,1] op_sel_hi:[0,1,0]
	;; [unrolled: 2-line block ×4, first 2 shown]
	v_mov_b32_e32 v57, v29
	v_mov_b32_e32 v59, v31
	;; [unrolled: 1-line block ×4, first 2 shown]
	v_pk_add_f32 v[22:23], v[56:57], v[58:59]
	v_pk_add_f32 v[28:29], v[54:55], v[60:61] neg_lo:[0,1] neg_hi:[0,1]
	v_pk_add_f32 v[52:53], v[54:55], v[56:57] neg_lo:[0,1] neg_hi:[0,1]
	;; [unrolled: 1-line block ×3, first 2 shown]
	v_pk_add_f32 v[64:65], v[54:55], v[60:61]
	v_pk_add_f32 v[66:67], v[56:57], v[54:55] neg_lo:[0,1] neg_hi:[0,1]
	v_pk_add_f32 v[68:69], v[58:59], v[60:61] neg_lo:[0,1] neg_hi:[0,1]
	v_pk_fma_f32 v[22:23], v[22:23], 0.5, v[20:21] op_sel_hi:[1,0,1] neg_lo:[1,0,0] neg_hi:[1,0,0]
	v_pk_add_f32 v[30:31], v[56:57], v[58:59] neg_lo:[0,1] neg_hi:[0,1]
	v_pk_add_f32 v[52:53], v[52:53], v[62:63]
	v_pk_fma_f32 v[62:63], v[64:65], 0.5, v[20:21] op_sel_hi:[1,0,1] neg_lo:[1,0,0] neg_hi:[1,0,0]
	v_pk_add_f32 v[64:65], v[66:67], v[68:69]
	v_pk_fma_f32 v[66:67], v[28:29], s[12:13], v[22:23] op_sel:[1,0,0] op_sel_hi:[0,0,1]
	v_pk_fma_f32 v[22:23], v[28:29], s[12:13], v[22:23] op_sel:[1,0,0] op_sel_hi:[0,0,1] neg_lo:[1,0,0] neg_hi:[1,0,0]
	v_pk_fma_f32 v[68:69], v[30:31], s[12:13], v[62:63] op_sel:[1,0,0] op_sel_hi:[0,0,1] neg_lo:[1,0,0] neg_hi:[1,0,0]
	v_pk_fma_f32 v[62:63], v[30:31], s[12:13], v[62:63] op_sel:[1,0,0] op_sel_hi:[0,0,1]
	v_pk_fma_f32 v[70:71], v[30:31], s[14:15], v[22:23] op_sel:[1,0,0] op_sel_hi:[0,0,1] neg_lo:[1,0,0] neg_hi:[1,0,0]
	v_pk_fma_f32 v[22:23], v[30:31], s[14:15], v[66:67] op_sel:[1,0,0] op_sel_hi:[0,0,1]
	v_pk_fma_f32 v[30:31], v[28:29], s[14:15], v[62:63] op_sel:[1,0,0] op_sel_hi:[0,0,1] neg_lo:[1,0,0] neg_hi:[1,0,0]
	v_mov_b32_e32 v62, v22
	v_mov_b32_e32 v63, v71
	;; [unrolled: 1-line block ×3, first 2 shown]
	v_pk_fma_f32 v[22:23], v[52:53], s[0:1], v[62:63] op_sel_hi:[1,0,1]
	v_pk_fma_f32 v[100:101], v[52:53], s[0:1], v[70:71] op_sel_hi:[1,0,1]
	v_pk_mul_f32 v[52:53], v[44:45], v[24:25] op_sel:[0,1]
	v_pk_fma_f32 v[28:29], v[28:29], s[14:15], v[68:69] op_sel:[1,0,0] op_sel_hi:[0,0,1]
	v_pk_fma_f32 v[62:63], v[44:45], v[24:25], v[52:53] op_sel:[0,0,1] op_sel_hi:[1,1,0] neg_lo:[0,0,1] neg_hi:[0,0,1]
	v_pk_fma_f32 v[44:45], v[44:45], v[24:25], v[52:53] op_sel:[0,0,1] op_sel_hi:[1,0,0]
	v_mov_b32_e32 v66, v28
	v_mov_b32_e32 v63, v45
	v_pk_mul_f32 v[44:45], v[40:41], v[110:111] op_sel_hi:[1,0]
	v_mov_b32_e32 v67, v31
	v_pk_fma_f32 v[52:53], v[40:41], v[26:27], v[44:45] op_sel:[0,0,1] op_sel_hi:[1,1,0] neg_lo:[0,0,1] neg_hi:[0,0,1]
	v_pk_fma_f32 v[40:41], v[40:41], v[26:27], v[44:45] op_sel:[0,0,1] op_sel_hi:[1,0,0]
	v_mov_b32_e32 v31, v29
	v_mov_b32_e32 v53, v41
	v_pk_mul_f32 v[40:41], v[48:49], v[16:17] op_sel:[0,1]
	v_pk_fma_f32 v[28:29], v[64:65], s[0:1], v[66:67] op_sel_hi:[1,0,1]
	v_pk_fma_f32 v[44:45], v[48:49], v[16:17], v[40:41] op_sel:[0,0,1] op_sel_hi:[1,1,0] neg_lo:[0,0,1] neg_hi:[0,0,1]
	v_pk_fma_f32 v[40:41], v[48:49], v[16:17], v[40:41] op_sel:[0,0,1] op_sel_hi:[1,0,0]
	v_pk_fma_f32 v[30:31], v[64:65], s[0:1], v[30:31] op_sel_hi:[1,0,1]
	v_mov_b32_e32 v45, v41
	v_pk_mul_f32 v[40:41], v[36:37], v[102:103] op_sel_hi:[1,0]
	v_pk_add_f32 v[68:69], v[52:53], v[44:45] neg_lo:[0,1] neg_hi:[0,1]
	v_pk_fma_f32 v[48:49], v[36:37], v[18:19], v[40:41] op_sel:[0,0,1] op_sel_hi:[1,1,0] neg_lo:[0,0,1] neg_hi:[0,0,1]
	v_pk_fma_f32 v[36:37], v[36:37], v[18:19], v[40:41] op_sel:[0,0,1] op_sel_hi:[1,0,0]
	v_pk_add_f32 v[40:41], v[52:53], v[44:45]
	v_mov_b32_e32 v49, v37
	v_pk_add_f32 v[64:65], v[62:63], v[48:49] neg_lo:[0,1] neg_hi:[0,1]
	v_pk_fma_f32 v[40:41], v[40:41], 0.5, v[32:33] op_sel_hi:[1,0,1] neg_lo:[1,0,0] neg_hi:[1,0,0]
	v_pk_mul_f32 v[66:67], v[64:65], s[12:13] op_sel_hi:[1,0]
	v_pk_add_f32 v[118:119], v[62:63], v[52:53] neg_lo:[0,1] neg_hi:[0,1]
	v_pk_add_f32 v[120:121], v[48:49], v[44:45] neg_lo:[0,1] neg_hi:[0,1]
	v_pk_add_f32 v[36:37], v[32:33], v[62:63]
	v_pk_mul_f32 v[70:71], v[68:69], s[14:15] op_sel_hi:[1,0]
	v_pk_add_f32 v[118:119], v[118:119], v[120:121]
	v_pk_add_f32 v[120:121], v[40:41], v[66:67] op_sel:[0,1] op_sel_hi:[1,0]
	v_pk_add_f32 v[40:41], v[40:41], v[66:67] op_sel:[0,1] op_sel_hi:[1,0] neg_lo:[0,1] neg_hi:[0,1]
	v_pk_add_f32 v[36:37], v[36:37], v[52:53]
	v_pk_add_f32 v[40:41], v[40:41], v[70:71] op_sel:[0,1] op_sel_hi:[1,0] neg_lo:[0,1] neg_hi:[0,1]
	v_pk_add_f32 v[66:67], v[120:121], v[70:71] op_sel:[0,1] op_sel_hi:[1,0]
	v_pk_add_f32 v[36:37], v[36:37], v[44:45]
	v_mov_b32_e32 v70, v66
	v_mov_b32_e32 v71, v41
	v_pk_add_f32 v[36:37], v[36:37], v[48:49]
	v_pk_fma_f32 v[70:71], v[118:119], s[0:1], v[70:71] op_sel_hi:[1,0,1]
	ds_write2_b64 v144, v[36:37], v[70:71] offset1:11
	v_pk_add_f32 v[36:37], v[62:63], v[48:49]
	v_pk_add_f32 v[44:45], v[44:45], v[48:49] neg_lo:[0,1] neg_hi:[0,1]
	v_pk_fma_f32 v[32:33], v[36:37], 0.5, v[32:33] op_sel_hi:[1,0,1] neg_lo:[1,0,0] neg_hi:[1,0,0]
	v_pk_add_f32 v[36:37], v[52:53], v[62:63] neg_lo:[0,1] neg_hi:[0,1]
	v_pk_mul_f32 v[48:49], v[64:65], s[14:15] op_sel_hi:[1,0]
	v_pk_add_f32 v[36:37], v[36:37], v[44:45]
	v_pk_mul_f32 v[44:45], v[68:69], s[12:13] op_sel_hi:[1,0]
	v_mov_b32_e32 v41, v67
	v_pk_add_f32 v[52:53], v[32:33], v[44:45] op_sel:[0,1] op_sel_hi:[1,0] neg_lo:[0,1] neg_hi:[0,1]
	v_pk_add_f32 v[32:33], v[32:33], v[44:45] op_sel:[0,1] op_sel_hi:[1,0]
	v_pk_add_f32 v[44:45], v[52:53], v[48:49] op_sel:[0,1] op_sel_hi:[1,0]
	v_pk_add_f32 v[32:33], v[32:33], v[48:49] op_sel:[0,1] op_sel_hi:[1,0] neg_lo:[0,1] neg_hi:[0,1]
	v_mov_b32_e32 v48, v44
	v_mov_b32_e32 v49, v33
	;; [unrolled: 1-line block ×3, first 2 shown]
	v_pk_fma_f32 v[48:49], v[36:37], s[0:1], v[48:49] op_sel_hi:[1,0,1]
	v_pk_fma_f32 v[32:33], v[36:37], s[0:1], v[32:33] op_sel_hi:[1,0,1]
	ds_write2_b64 v144, v[48:49], v[32:33] offset0:22 offset1:33
	v_pk_fma_f32 v[32:33], v[118:119], s[0:1], v[40:41] op_sel_hi:[1,0,1]
	ds_write_b64 v144, v[32:33] offset:352
	v_pk_mul_f32 v[32:33], v[46:47], v[12:13] op_sel:[0,1]
	v_mul_u32_u24_e32 v17, 55, v73
	v_pk_fma_f32 v[36:37], v[46:47], v[12:13], v[32:33] op_sel:[0,0,1] op_sel_hi:[1,1,0] neg_lo:[0,0,1] neg_hi:[0,0,1]
	v_pk_fma_f32 v[32:33], v[46:47], v[12:13], v[32:33] op_sel:[0,0,1] op_sel_hi:[1,0,0]
	v_add_lshl_u32 v145, v17, v103, 3
	v_mov_b32_e32 v37, v33
	v_pk_mul_f32 v[32:33], v[42:43], v[112:113] op_sel_hi:[1,0]
	s_nop 0
	v_pk_fma_f32 v[40:41], v[42:43], v[14:15], v[32:33] op_sel:[0,0,1] op_sel_hi:[1,1,0] neg_lo:[0,0,1] neg_hi:[0,0,1]
	v_pk_fma_f32 v[32:33], v[42:43], v[14:15], v[32:33] op_sel:[0,0,1] op_sel_hi:[1,0,0]
	s_nop 0
	v_mov_b32_e32 v41, v33
	v_pk_mul_f32 v[32:33], v[50:51], v[8:9] op_sel:[0,1]
	v_pk_add_f32 v[62:63], v[36:37], v[40:41] neg_lo:[0,1] neg_hi:[0,1]
	v_pk_fma_f32 v[42:43], v[50:51], v[8:9], v[32:33] op_sel:[0,0,1] op_sel_hi:[1,1,0] neg_lo:[0,0,1] neg_hi:[0,0,1]
	v_pk_fma_f32 v[32:33], v[50:51], v[8:9], v[32:33] op_sel:[0,0,1] op_sel_hi:[1,0,0]
	s_nop 0
	v_mov_b32_e32 v43, v33
	v_pk_mul_f32 v[32:33], v[38:39], v[104:105] op_sel_hi:[1,0]
	v_pk_add_f32 v[50:51], v[40:41], v[42:43] neg_lo:[0,1] neg_hi:[0,1]
	v_pk_fma_f32 v[44:45], v[38:39], v[10:11], v[32:33] op_sel:[0,0,1] op_sel_hi:[1,1,0] neg_lo:[0,0,1] neg_hi:[0,0,1]
	v_pk_fma_f32 v[32:33], v[38:39], v[10:11], v[32:33] op_sel:[0,0,1] op_sel_hi:[1,0,0]
	v_pk_add_f32 v[38:39], v[40:41], v[42:43]
	v_mov_b32_e32 v45, v33
	v_pk_add_f32 v[46:47], v[36:37], v[44:45] neg_lo:[0,1] neg_hi:[0,1]
	v_pk_fma_f32 v[38:39], v[38:39], 0.5, v[34:35] op_sel_hi:[1,0,1] neg_lo:[1,0,0] neg_hi:[1,0,0]
	v_pk_mul_f32 v[48:49], v[46:47], s[12:13] op_sel_hi:[1,0]
	v_pk_add_f32 v[64:65], v[44:45], v[42:43] neg_lo:[0,1] neg_hi:[0,1]
	v_pk_add_f32 v[32:33], v[34:35], v[36:37]
	v_pk_mul_f32 v[52:53], v[50:51], s[14:15] op_sel_hi:[1,0]
	v_pk_add_f32 v[62:63], v[62:63], v[64:65]
	v_pk_add_f32 v[64:65], v[38:39], v[48:49] op_sel:[0,1] op_sel_hi:[1,0]
	v_pk_add_f32 v[38:39], v[38:39], v[48:49] op_sel:[0,1] op_sel_hi:[1,0] neg_lo:[0,1] neg_hi:[0,1]
	v_pk_add_f32 v[32:33], v[32:33], v[40:41]
	v_pk_add_f32 v[38:39], v[38:39], v[52:53] op_sel:[0,1] op_sel_hi:[1,0] neg_lo:[0,1] neg_hi:[0,1]
	v_pk_add_f32 v[48:49], v[64:65], v[52:53] op_sel:[0,1] op_sel_hi:[1,0]
	v_pk_add_f32 v[32:33], v[32:33], v[42:43]
	v_mov_b32_e32 v52, v48
	v_mov_b32_e32 v53, v39
	v_pk_add_f32 v[32:33], v[32:33], v[44:45]
	v_pk_fma_f32 v[52:53], v[62:63], s[0:1], v[52:53] op_sel_hi:[1,0,1]
	ds_write2_b64 v145, v[32:33], v[52:53] offset1:11
	v_pk_add_f32 v[32:33], v[36:37], v[44:45]
	v_mov_b32_e32 v39, v49
	v_pk_fma_f32 v[32:33], v[32:33], 0.5, v[34:35] op_sel_hi:[1,0,1] neg_lo:[1,0,0] neg_hi:[1,0,0]
	v_pk_add_f32 v[34:35], v[40:41], v[36:37] neg_lo:[0,1] neg_hi:[0,1]
	v_pk_add_f32 v[36:37], v[42:43], v[44:45] neg_lo:[0,1] neg_hi:[0,1]
	v_pk_mul_f32 v[40:41], v[46:47], s[14:15] op_sel_hi:[1,0]
	v_pk_add_f32 v[34:35], v[34:35], v[36:37]
	v_pk_mul_f32 v[36:37], v[50:51], s[12:13] op_sel_hi:[1,0]
	s_nop 0
	v_pk_add_f32 v[42:43], v[32:33], v[36:37] op_sel:[0,1] op_sel_hi:[1,0] neg_lo:[0,1] neg_hi:[0,1]
	v_pk_add_f32 v[32:33], v[32:33], v[36:37] op_sel:[0,1] op_sel_hi:[1,0]
	v_pk_add_f32 v[36:37], v[42:43], v[40:41] op_sel:[0,1] op_sel_hi:[1,0]
	v_pk_add_f32 v[32:33], v[32:33], v[40:41] op_sel:[0,1] op_sel_hi:[1,0] neg_lo:[0,1] neg_hi:[0,1]
	v_mov_b32_e32 v40, v36
	v_mov_b32_e32 v41, v33
	v_mov_b32_e32 v33, v37
	v_pk_fma_f32 v[40:41], v[34:35], s[0:1], v[40:41] op_sel_hi:[1,0,1]
	v_pk_fma_f32 v[32:33], v[34:35], s[0:1], v[32:33] op_sel_hi:[1,0,1]
	ds_write2_b64 v145, v[40:41], v[32:33] offset0:22 offset1:33
	v_pk_fma_f32 v[32:33], v[62:63], s[0:1], v[38:39] op_sel_hi:[1,0,1]
	ds_write_b64 v145, v[32:33] offset:352
	s_and_saveexec_b64 s[0:1], vcc
	s_cbranch_execz .LBB0_5
; %bb.4:
	v_pk_add_f32 v[20:21], v[20:21], v[54:55]
	v_mov_b32_e32 v9, 3
	v_pk_add_f32 v[20:21], v[20:21], v[56:57]
	v_lshlrev_b32_sdwa v9, v9, v87 dst_sel:DWORD dst_unused:UNUSED_PAD src0_sel:DWORD src1_sel:BYTE_0
	v_pk_add_f32 v[20:21], v[20:21], v[58:59]
	v_add_u32_e32 v11, 0x1000, v9
	v_pk_add_f32 v[20:21], v[20:21], v[60:61]
	ds_write2_b64 v11, v[20:21], v[22:23] offset0:38 offset1:49
	ds_write2_b64 v11, v[28:29], v[30:31] offset0:60 offset1:71
	ds_write_b64 v9, v[100:101] offset:4752
.LBB0_5:
	s_or_b64 exec, exec, s[0:1]
	s_movk_i32 s0, 0x50
	v_mov_b64_e32 v[20:21], s[10:11]
	v_mad_u64_u32 v[20:21], s[0:1], v86, s0, v[20:21]
	s_waitcnt lgkmcnt(0)
	; wave barrier
	s_waitcnt lgkmcnt(0)
	global_load_dwordx4 v[32:35], v[20:21], off offset:400
	global_load_dwordx4 v[40:43], v[20:21], off offset:384
	;; [unrolled: 1-line block ×5, first 2 shown]
	ds_read2_b64 v[56:59], v72 offset0:110 offset1:165
	ds_read2_b64 v[52:55], v72 offset1:55
	v_add_u32_e32 v121, 0x400, v72
	v_add_u32_e32 v119, 0x800, v72
	ds_read_b64 v[20:21], v72 offset:4400
	ds_read2_b64 v[60:63], v121 offset0:92 offset1:147
	ds_read2_b64 v[64:67], v119 offset0:74 offset1:129
	;; [unrolled: 1-line block ×3, first 2 shown]
	s_mov_b32 s10, 0xbf0a6770
	s_mov_b32 s11, 0x3f575c64
	;; [unrolled: 1-line block ×33, first 2 shown]
	v_mov_b32_e32 v73, 0
	v_mov_b32_e32 v25, v24
	;; [unrolled: 1-line block ×16, first 2 shown]
	s_waitcnt vmcnt(4)
	v_mov_b32_e32 v120, v35
	s_waitcnt lgkmcnt(1)
	v_pk_mul_f32 v[136:137], v[66:67], v[32:33] op_sel:[0,1]
	s_waitcnt vmcnt(2)
	v_mov_b32_e32 v124, v51
	s_waitcnt vmcnt(1)
	v_mov_b32_e32 v128, v37
	v_pk_mul_f32 v[130:131], v[54:55], v[36:37] op_sel:[1,0] op_sel_hi:[0,1]
	v_pk_mul_f32 v[132:133], v[58:59], v[48:49] op_sel:[0,1]
	v_mov_b32_e32 v126, v39
	s_waitcnt vmcnt(0)
	v_mov_b32_e32 v118, v47
	s_waitcnt lgkmcnt(0)
	v_pk_mul_f32 v[138:139], v[70:71], v[44:45] op_sel:[0,1]
	v_pk_mul_f32 v[128:129], v[54:55], v[128:129] op_sel:[1,0] op_sel_hi:[0,1]
	v_mov_b32_e32 v130, v131
	v_pk_fma_f32 v[142:143], v[58:59], v[48:49], v[132:133] op_sel:[0,0,1] op_sel_hi:[1,1,0] neg_lo:[0,0,1] neg_hi:[0,0,1]
	v_pk_fma_f32 v[58:59], v[58:59], v[48:49], v[132:133] op_sel:[0,0,1] op_sel_hi:[1,0,0]
	v_pk_mul_f32 v[132:133], v[60:61], v[124:125] op_sel_hi:[1,0]
	v_pk_mul_f32 v[140:141], v[56:57], v[126:127] op_sel_hi:[1,0]
	v_pk_fma_f32 v[148:149], v[66:67], v[32:33], v[136:137] op_sel:[0,0,1] op_sel_hi:[1,1,0] neg_lo:[0,0,1] neg_hi:[0,0,1]
	v_pk_fma_f32 v[66:67], v[66:67], v[32:33], v[136:137] op_sel:[0,0,1] op_sel_hi:[1,0,0]
	v_pk_mul_f32 v[136:137], v[68:69], v[120:121] op_sel_hi:[1,0]
	v_pk_fma_f32 v[150:151], v[70:71], v[44:45], v[138:139] op_sel:[0,0,1] op_sel_hi:[1,1,0] neg_lo:[0,0,1] neg_hi:[0,0,1]
	v_pk_fma_f32 v[70:71], v[70:71], v[44:45], v[138:139] op_sel:[0,0,1] op_sel_hi:[1,0,0]
	v_pk_mul_f32 v[138:139], v[20:21], v[118:119] op_sel_hi:[1,0]
	v_pk_fma_f32 v[128:129], v[54:55], v[36:37], v[128:129] neg_lo:[0,0,1] neg_hi:[0,0,1]
	v_pk_fma_f32 v[54:55], v[54:55], v[36:37], v[130:131] op_sel:[1,0,0] op_sel_hi:[0,1,1]
	v_mov_b32_e32 v143, v59
	v_pk_fma_f32 v[58:59], v[60:61], v[50:51], v[132:133] op_sel:[0,0,1] op_sel_hi:[1,1,0] neg_lo:[0,0,1] neg_hi:[0,0,1]
	v_pk_fma_f32 v[60:61], v[60:61], v[50:51], v[132:133] op_sel:[0,0,1] op_sel_hi:[1,0,0]
	v_pk_fma_f32 v[152:153], v[56:57], v[38:39], v[140:141] op_sel:[0,0,1] op_sel_hi:[1,1,0] neg_lo:[0,0,1] neg_hi:[0,0,1]
	v_pk_fma_f32 v[56:57], v[56:57], v[38:39], v[140:141] op_sel:[0,0,1] op_sel_hi:[1,0,0]
	v_mov_b32_e32 v149, v67
	v_pk_fma_f32 v[66:67], v[68:69], v[34:35], v[136:137] op_sel:[0,0,1] op_sel_hi:[1,1,0] neg_lo:[0,0,1] neg_hi:[0,0,1]
	v_pk_fma_f32 v[68:69], v[68:69], v[34:35], v[136:137] op_sel:[0,0,1] op_sel_hi:[1,0,0]
	v_mov_b32_e32 v151, v71
	;; [unrolled: 3-line block ×3, first 2 shown]
	v_mov_b32_e32 v60, v128
	v_mov_b32_e32 v61, v54
	;; [unrolled: 1-line block ×4, first 2 shown]
	v_pk_add_f32 v[60:61], v[52:53], v[60:61]
	v_mov_b32_e32 v122, v43
	v_pk_mul_f32 v[134:135], v[62:63], v[40:41] op_sel:[0,1]
	v_mov_b32_e32 v9, v54
	v_pk_add_f32 v[136:137], v[54:55], v[68:69] neg_lo:[0,1] neg_hi:[0,1]
	v_pk_add_f32 v[54:55], v[60:61], v[152:153]
	v_pk_fma_f32 v[146:147], v[62:63], v[40:41], v[134:135] op_sel:[0,0,1] op_sel_hi:[1,1,0] neg_lo:[0,0,1] neg_hi:[0,0,1]
	v_pk_fma_f32 v[62:63], v[62:63], v[40:41], v[134:135] op_sel:[0,0,1] op_sel_hi:[1,0,0]
	v_pk_mul_f32 v[134:135], v[64:65], v[122:123] op_sel_hi:[1,0]
	v_pk_add_f32 v[54:55], v[54:55], v[142:143]
	v_mov_b32_e32 v147, v63
	v_pk_fma_f32 v[62:63], v[64:65], v[42:43], v[134:135] op_sel:[0,0,1] op_sel_hi:[1,1,0] neg_lo:[0,0,1] neg_hi:[0,0,1]
	v_pk_fma_f32 v[64:65], v[64:65], v[42:43], v[134:135] op_sel:[0,0,1] op_sel_hi:[1,0,0]
	v_pk_add_f32 v[54:55], v[54:55], v[58:59]
	v_mov_b32_e32 v63, v65
	v_pk_add_f32 v[54:55], v[54:55], v[146:147]
	v_mov_b32_e32 v67, v69
	v_pk_add_f32 v[54:55], v[54:55], v[62:63]
	v_pk_add_f32 v[134:135], v[128:129], v[70:71]
	;; [unrolled: 1-line block ×3, first 2 shown]
	v_pk_add_f32 v[64:65], v[128:129], v[70:71] neg_lo:[0,1] neg_hi:[0,1]
	v_pk_add_f32 v[54:55], v[54:55], v[66:67]
	v_mov_b32_e32 v56, v70
	v_mov_b32_e32 v57, v21
	v_pk_add_f32 v[20:21], v[8:9], v[20:21]
	v_pk_add_f32 v[54:55], v[54:55], v[150:151]
	v_mov_b32_e32 v135, v64
	v_pk_add_f32 v[140:141], v[142:143], v[66:67]
	v_pk_add_f32 v[70:71], v[142:143], v[66:67] neg_lo:[0,1] neg_hi:[0,1]
	v_mov_b32_e32 v20, v136
	v_pk_add_f32 v[142:143], v[54:55], v[56:57]
	v_pk_mul_f32 v[56:57], v[134:135], s[0:1]
	v_pk_add_f32 v[154:155], v[58:59], v[148:149]
	v_pk_add_f32 v[128:129], v[58:59], v[148:149] neg_lo:[0,1] neg_hi:[0,1]
	v_pk_fma_f32 v[58:59], v[136:137], s[10:11], v[56:57] neg_lo:[1,0,0] neg_hi:[1,0,0]
	v_pk_fma_f32 v[54:55], v[20:21], s[10:11], v[56:57]
	v_pk_add_f32 v[138:139], v[152:153], v[150:151]
	v_pk_add_f32 v[68:69], v[152:153], v[150:151] neg_lo:[0,1] neg_hi:[0,1]
	v_mov_b32_e32 v59, v55
	v_pk_add_f32 v[64:65], v[52:53], v[58:59]
	v_mov_b32_e32 v59, v139
	v_mov_b32_e32 v139, v68
	v_pk_add_f32 v[156:157], v[146:147], v[62:63]
	v_pk_add_f32 v[158:159], v[146:147], v[62:63] neg_lo:[0,1] neg_hi:[0,1]
	v_mov_b32_e32 v58, v69
	v_pk_mul_f32 v[62:63], v[138:139], s[34:35]
	v_pk_mul_f32 v[180:181], v[138:139], s[20:21]
	v_pk_fma_f32 v[66:67], v[58:59], s[24:25], v[62:63] neg_lo:[1,0,0] neg_hi:[1,0,0]
	v_pk_fma_f32 v[60:61], v[58:59], s[24:25], v[62:63]
	v_pk_fma_f32 v[182:183], v[58:59], s[26:27], v[180:181] neg_lo:[1,0,0] neg_hi:[1,0,0]
	v_mov_b32_e32 v67, v61
	v_pk_add_f32 v[130:131], v[66:67], v[64:65]
	v_mov_b32_e32 v65, v141
	v_mov_b32_e32 v141, v70
	;; [unrolled: 1-line block ×3, first 2 shown]
	v_pk_mul_f32 v[68:69], v[140:141], s[36:37]
	v_pk_fma_f32 v[184:185], v[58:59], s[26:27], v[180:181]
	v_pk_fma_f32 v[70:71], v[64:65], s[12:13], v[68:69] neg_lo:[1,0,0] neg_hi:[1,0,0]
	v_pk_fma_f32 v[66:67], v[64:65], s[12:13], v[68:69]
	v_mov_b32_e32 v183, v185
	v_mov_b32_e32 v71, v67
	v_pk_add_f32 v[132:133], v[70:71], v[130:131]
	v_mov_b32_e32 v71, v155
	v_mov_b32_e32 v155, v128
	;; [unrolled: 1-line block ×3, first 2 shown]
	v_pk_mul_f32 v[130:131], v[154:155], s[28:29]
	v_pk_mul_f32 v[198:199], v[138:139], s[38:39]
	v_pk_fma_f32 v[146:147], v[70:71], s[14:15], v[130:131] neg_lo:[1,0,0] neg_hi:[1,0,0]
	v_pk_fma_f32 v[128:129], v[70:71], s[14:15], v[130:131]
	v_pk_fma_f32 v[200:201], v[58:59], s[22:23], v[198:199] neg_lo:[1,0,0] neg_hi:[1,0,0]
	v_mov_b32_e32 v147, v129
	v_pk_add_f32 v[146:147], v[146:147], v[132:133]
	v_mov_b32_e32 v133, v157
	v_mov_b32_e32 v157, v158
	v_mov_b32_e32 v132, v159
	v_pk_mul_f32 v[148:149], v[156:157], s[30:31]
	v_pk_mul_f32 v[158:159], v[138:139], s[28:29]
	v_pk_fma_f32 v[150:151], v[132:133], s[16:17], v[148:149] neg_lo:[1,0,0] neg_hi:[1,0,0]
	v_pk_fma_f32 v[152:153], v[132:133], s[16:17], v[148:149]
	v_pk_fma_f32 v[160:161], v[58:59], s[14:15], v[158:159] neg_lo:[1,0,0] neg_hi:[1,0,0]
	v_mov_b32_e32 v151, v153
	v_pk_add_f32 v[146:147], v[150:151], v[146:147]
	ds_write2_b64 v72, v[142:143], v[146:147] offset1:55
	v_pk_mul_f32 v[142:143], v[134:135], s[34:35]
	v_pk_fma_f32 v[162:163], v[58:59], s[14:15], v[158:159]
	v_pk_fma_f32 v[146:147], v[136:137], s[24:25], v[142:143] neg_lo:[1,0,0] neg_hi:[1,0,0]
	v_pk_fma_f32 v[150:151], v[20:21], s[24:25], v[142:143]
	v_mov_b32_e32 v161, v163
	v_mov_b32_e32 v147, v151
	v_pk_add_f32 v[146:147], v[52:53], v[146:147]
	v_pk_fma_f32 v[202:203], v[58:59], s[22:23], v[198:199]
	v_pk_add_f32 v[146:147], v[160:161], v[146:147]
	v_pk_mul_f32 v[160:161], v[140:141], s[20:21]
	s_mov_b32 s20, 0x3f68dda4
	v_pk_fma_f32 v[164:165], v[64:65], s[26:27], v[160:161] neg_lo:[1,0,0] neg_hi:[1,0,0]
	v_pk_fma_f32 v[166:167], v[64:65], s[26:27], v[160:161]
	s_mov_b32 s43, s20
	v_mov_b32_e32 v165, v167
	v_pk_add_f32 v[146:147], v[164:165], v[146:147]
	v_pk_mul_f32 v[164:165], v[154:155], s[38:39]
	s_mov_b32 s21, s25
	v_pk_fma_f32 v[168:169], v[70:71], s[22:23], v[164:165] neg_lo:[1,0,0] neg_hi:[1,0,0]
	v_pk_fma_f32 v[170:171], v[70:71], s[22:23], v[164:165]
	v_mov_b32_e32 v201, v203
	v_mov_b32_e32 v169, v171
	v_pk_add_f32 v[146:147], v[168:169], v[146:147]
	v_pk_mul_f32 v[168:169], v[156:157], s[40:41]
	v_pk_mul_f32 v[138:139], v[138:139], s[40:41]
	v_pk_fma_f32 v[172:173], v[132:133], s[18:19], v[168:169] neg_lo:[1,0,0] neg_hi:[1,0,0]
	v_pk_fma_f32 v[174:175], v[132:133], s[18:19], v[168:169]
	v_pk_fma_f32 v[216:217], v[58:59], s[18:19], v[138:139] neg_lo:[1,0,0] neg_hi:[1,0,0]
	v_mov_b32_e32 v173, v175
	v_pk_add_f32 v[146:147], v[172:173], v[146:147]
	v_pk_mul_f32 v[172:173], v[134:135], s[36:37]
	v_pk_fma_f32 v[218:219], v[58:59], s[18:19], v[138:139]
	v_pk_fma_f32 v[176:177], v[136:137], s[12:13], v[172:173] neg_lo:[1,0,0] neg_hi:[1,0,0]
	v_pk_fma_f32 v[178:179], v[20:21], s[12:13], v[172:173]
	v_mov_b32_e32 v217, v219
	v_mov_b32_e32 v177, v179
	v_pk_add_f32 v[176:177], v[52:53], v[176:177]
	v_add_u32_e32 v35, 0xc00, v72
	v_pk_add_f32 v[176:177], v[182:183], v[176:177]
	v_pk_mul_f32 v[182:183], v[140:141], s[42:43]
	s_nop 0
	v_pk_fma_f32 v[186:187], v[64:65], s[20:21], v[182:183] neg_lo:[1,0,0] neg_hi:[1,0,0]
	v_pk_fma_f32 v[188:189], v[64:65], s[20:21], v[182:183]
	s_nop 0
	v_mov_b32_e32 v187, v189
	v_pk_add_f32 v[176:177], v[186:187], v[176:177]
	v_pk_mul_f32 v[186:187], v[154:155], s[0:1]
	s_nop 0
	v_pk_fma_f32 v[190:191], v[70:71], s[10:11], v[186:187] neg_lo:[1,0,0] neg_hi:[1,0,0]
	v_pk_fma_f32 v[192:193], v[70:71], s[10:11], v[186:187]
	s_nop 0
	v_mov_b32_e32 v191, v193
	;; [unrolled: 7-line block ×3, first 2 shown]
	v_pk_add_f32 v[176:177], v[194:195], v[176:177]
	ds_write2_b64 v72, v[146:147], v[176:177] offset0:110 offset1:165
	v_pk_mul_f32 v[146:147], v[134:135], s[28:29]
	v_pk_mul_f32 v[134:135], v[134:135], s[30:31]
	v_pk_fma_f32 v[176:177], v[136:137], s[14:15], v[146:147] neg_lo:[1,0,0] neg_hi:[1,0,0]
	v_pk_fma_f32 v[194:195], v[20:21], s[14:15], v[146:147]
	v_pk_fma_f32 v[136:137], v[136:137], s[16:17], v[134:135] neg_lo:[1,0,0] neg_hi:[1,0,0]
	v_mov_b32_e32 v177, v195
	v_pk_add_f32 v[176:177], v[52:53], v[176:177]
	s_nop 0
	v_pk_add_f32 v[176:177], v[200:201], v[176:177]
	v_pk_mul_f32 v[200:201], v[140:141], s[0:1]
	v_pk_mul_f32 v[140:141], v[140:141], s[28:29]
	v_pk_fma_f32 v[204:205], v[64:65], s[10:11], v[200:201] neg_lo:[1,0,0] neg_hi:[1,0,0]
	v_pk_fma_f32 v[206:207], v[64:65], s[10:11], v[200:201]
	v_pk_fma_f32 v[220:221], v[64:65], s[14:15], v[140:141]
	v_mov_b32_e32 v205, v207
	v_pk_add_f32 v[176:177], v[204:205], v[176:177]
	v_pk_mul_f32 v[204:205], v[154:155], s[30:31]
	v_pk_mul_f32 v[154:155], v[154:155], s[42:43]
	v_pk_fma_f32 v[208:209], v[70:71], s[16:17], v[204:205] neg_lo:[1,0,0] neg_hi:[1,0,0]
	v_pk_fma_f32 v[210:211], v[70:71], s[16:17], v[204:205]
	v_pk_fma_f32 v[222:223], v[70:71], s[20:21], v[154:155]
	v_mov_b32_e32 v209, v211
	;; [unrolled: 7-line block ×3, first 2 shown]
	v_pk_add_f32 v[176:177], v[212:213], v[176:177]
	v_pk_fma_f32 v[212:213], v[20:21], s[16:17], v[134:135]
	v_pk_fma_f32 v[134:135], v[20:21], s[16:17], v[134:135] neg_lo:[0,0,1] neg_hi:[0,0,1]
	v_mov_b32_e32 v137, v213
	v_pk_add_f32 v[136:137], v[52:53], v[136:137]
	v_mov_b32_e32 v213, v135
	v_pk_add_f32 v[136:137], v[216:217], v[136:137]
	v_pk_fma_f32 v[216:217], v[64:65], s[14:15], v[140:141] neg_lo:[1,0,0] neg_hi:[1,0,0]
	v_pk_fma_f32 v[134:135], v[58:59], s[18:19], v[138:139] neg_lo:[0,0,1] neg_hi:[0,0,1]
	v_mov_b32_e32 v217, v221
	v_pk_add_f32 v[136:137], v[216:217], v[136:137]
	v_pk_fma_f32 v[216:217], v[70:71], s[20:21], v[154:155] neg_lo:[1,0,0] neg_hi:[1,0,0]
	v_mov_b32_e32 v219, v135
	v_mov_b32_e32 v217, v223
	v_pk_add_f32 v[136:137], v[216:217], v[136:137]
	v_pk_fma_f32 v[216:217], v[132:133], s[12:13], v[156:157] neg_lo:[1,0,0] neg_hi:[1,0,0]
	v_pk_add_f32 v[134:135], v[52:53], v[212:213]
	v_mov_b32_e32 v217, v225
	v_pk_add_f32 v[136:137], v[216:217], v[136:137]
	ds_write2_b64 v121, v[176:177], v[136:137] offset0:92 offset1:147
	v_pk_fma_f32 v[136:137], v[64:65], s[14:15], v[140:141] neg_lo:[0,0,1] neg_hi:[0,0,1]
	v_pk_fma_f32 v[138:139], v[64:65], s[10:11], v[200:201] neg_lo:[0,0,1] neg_hi:[0,0,1]
	v_mov_b32_e32 v221, v137
	v_pk_fma_f32 v[136:137], v[70:71], s[20:21], v[154:155] neg_lo:[0,0,1] neg_hi:[0,0,1]
	v_pk_add_f32 v[134:135], v[218:219], v[134:135]
	v_mov_b32_e32 v223, v137
	v_pk_fma_f32 v[136:137], v[132:133], s[12:13], v[156:157] neg_lo:[0,0,1] neg_hi:[0,0,1]
	v_mov_b32_e32 v207, v139
	v_mov_b32_e32 v225, v137
	v_pk_fma_f32 v[136:137], v[20:21], s[14:15], v[146:147] neg_lo:[0,0,1] neg_hi:[0,0,1]
	v_pk_fma_f32 v[138:139], v[70:71], s[16:17], v[204:205] neg_lo:[0,0,1] neg_hi:[0,0,1]
	v_mov_b32_e32 v195, v137
	v_pk_fma_f32 v[136:137], v[58:59], s[22:23], v[198:199] neg_lo:[0,0,1] neg_hi:[0,0,1]
	v_pk_add_f32 v[134:135], v[220:221], v[134:135]
	v_mov_b32_e32 v203, v137
	v_pk_add_f32 v[136:137], v[52:53], v[194:195]
	v_mov_b32_e32 v211, v139
	v_pk_add_f32 v[136:137], v[202:203], v[136:137]
	v_pk_fma_f32 v[138:139], v[132:133], s[20:21], v[208:209] neg_lo:[0,0,1] neg_hi:[0,0,1]
	v_pk_add_f32 v[136:137], v[206:207], v[136:137]
	v_pk_add_f32 v[134:135], v[222:223], v[134:135]
	;; [unrolled: 1-line block ×3, first 2 shown]
	v_mov_b32_e32 v215, v139
	v_pk_add_f32 v[134:135], v[224:225], v[134:135]
	v_pk_add_f32 v[136:137], v[214:215], v[136:137]
	ds_write2_b64 v119, v[134:135], v[136:137] offset0:74 offset1:129
	v_pk_fma_f32 v[136:137], v[64:65], s[20:21], v[182:183] neg_lo:[0,0,1] neg_hi:[0,0,1]
	v_pk_fma_f32 v[134:135], v[20:21], s[12:13], v[172:173] neg_lo:[0,0,1] neg_hi:[0,0,1]
	v_mov_b32_e32 v189, v137
	v_pk_fma_f32 v[136:137], v[70:71], s[10:11], v[186:187] neg_lo:[0,0,1] neg_hi:[0,0,1]
	v_mov_b32_e32 v179, v135
	v_mov_b32_e32 v193, v137
	v_pk_fma_f32 v[136:137], v[132:133], s[14:15], v[190:191] neg_lo:[0,0,1] neg_hi:[0,0,1]
	v_pk_fma_f32 v[134:135], v[58:59], s[26:27], v[180:181] neg_lo:[0,0,1] neg_hi:[0,0,1]
	v_mov_b32_e32 v197, v137
	v_pk_fma_f32 v[136:137], v[20:21], s[24:25], v[142:143] neg_lo:[0,0,1] neg_hi:[0,0,1]
	v_pk_fma_f32 v[20:21], v[20:21], s[10:11], v[56:57] neg_lo:[0,0,1] neg_hi:[0,0,1]
	v_mov_b32_e32 v151, v137
	v_pk_fma_f32 v[136:137], v[58:59], s[14:15], v[158:159] neg_lo:[0,0,1] neg_hi:[0,0,1]
	v_mov_b32_e32 v55, v21
	v_mov_b32_e32 v185, v135
	v_pk_add_f32 v[134:135], v[52:53], v[178:179]
	v_mov_b32_e32 v163, v137
	v_pk_add_f32 v[136:137], v[52:53], v[150:151]
	v_pk_add_f32 v[20:21], v[52:53], v[54:55]
	v_pk_fma_f32 v[52:53], v[58:59], s[24:25], v[62:63] neg_lo:[0,0,1] neg_hi:[0,0,1]
	v_pk_fma_f32 v[138:139], v[64:65], s[26:27], v[160:161] neg_lo:[0,0,1] neg_hi:[0,0,1]
	v_mov_b32_e32 v61, v53
	v_pk_fma_f32 v[52:53], v[64:65], s[12:13], v[68:69] neg_lo:[0,0,1] neg_hi:[0,0,1]
	v_pk_add_f32 v[20:21], v[60:61], v[20:21]
	v_mov_b32_e32 v67, v53
	v_pk_fma_f32 v[52:53], v[70:71], s[14:15], v[130:131] neg_lo:[0,0,1] neg_hi:[0,0,1]
	v_pk_add_f32 v[20:21], v[66:67], v[20:21]
	;; [unrolled: 3-line block ×3, first 2 shown]
	v_pk_add_f32 v[136:137], v[162:163], v[136:137]
	v_mov_b32_e32 v167, v139
	v_pk_fma_f32 v[140:141], v[70:71], s[22:23], v[164:165] neg_lo:[0,0,1] neg_hi:[0,0,1]
	v_pk_add_f32 v[20:21], v[128:129], v[20:21]
	v_mov_b32_e32 v153, v53
	v_pk_add_f32 v[134:135], v[188:189], v[134:135]
	v_lshl_add_u64 v[138:139], s[8:9], 0, v[72:73]
	v_pk_add_f32 v[136:137], v[166:167], v[136:137]
	v_mov_b32_e32 v171, v141
	v_pk_fma_f32 v[140:141], v[132:133], s[18:19], v[168:169] neg_lo:[0,0,1] neg_hi:[0,0,1]
	v_pk_add_f32 v[20:21], v[152:153], v[20:21]
	s_movk_i32 s0, 0x1000
	v_pk_add_f32 v[134:135], v[192:193], v[134:135]
	v_pk_add_f32 v[136:137], v[170:171], v[136:137]
	v_mov_b32_e32 v175, v141
	ds_write_b64 v72, v[20:21] offset:4400
	v_add_co_u32_e64 v20, s[0:1], s0, v138
	v_pk_add_f32 v[134:135], v[196:197], v[134:135]
	v_pk_add_f32 v[136:137], v[174:175], v[136:137]
	v_addc_co_u32_e64 v21, s[0:1], 0, v139, s[0:1]
	ds_write2_b64 v119, v[134:135], v[136:137] offset0:184 offset1:239
	s_waitcnt lgkmcnt(0)
	; wave barrier
	s_waitcnt lgkmcnt(0)
	global_load_dwordx2 v[20:21], v[20:21], off offset:744
	s_mov_b64 s[0:1], 0x12e8
	v_lshl_add_u64 v[52:53], v[138:139], 0, s[0:1]
	global_load_dwordx2 v[56:57], v[52:53], off offset:440
	global_load_dwordx2 v[58:59], v[52:53], off offset:880
	;; [unrolled: 1-line block ×8, first 2 shown]
	s_movk_i32 s0, 0x2000
	v_add_co_u32_e64 v54, s[0:1], s0, v138
	s_mov_b32 s8, s15
	s_nop 0
	v_addc_co_u32_e64 v55, s[0:1], 0, v139, s[0:1]
	global_load_dwordx2 v[128:129], v[54:55], off offset:1048
	global_load_dwordx2 v[130:131], v[52:53], off offset:3960
	ds_read2_b64 v[52:55], v72 offset1:55
	s_mov_b32 s0, s11
	s_waitcnt vmcnt(10) lgkmcnt(0)
	v_mul_f32_e32 v9, v53, v21
	v_fma_f32 v132, v52, v20, -v9
	v_mul_f32_e32 v133, v52, v21
	s_waitcnt vmcnt(9)
	v_mul_f32_e32 v9, v55, v57
	v_mul_f32_e32 v21, v54, v57
	v_fmac_f32_e32 v133, v53, v20
	v_fma_f32 v20, v54, v56, -v9
	v_fmac_f32_e32 v21, v55, v56
	ds_write2_b64 v72, v[132:133], v[20:21] offset1:55
	ds_read2_b64 v[52:55], v72 offset0:110 offset1:165
	s_waitcnt vmcnt(8) lgkmcnt(0)
	v_mul_f32_e32 v9, v53, v59
	v_mul_f32_e32 v21, v52, v59
	v_fma_f32 v20, v52, v58, -v9
	v_fmac_f32_e32 v21, v53, v58
	ds_read2_b64 v[56:59], v121 offset0:92 offset1:147
	s_waitcnt vmcnt(7)
	v_mul_f32_e32 v9, v55, v61
	v_mul_f32_e32 v53, v54, v61
	v_fma_f32 v52, v54, v60, -v9
	v_fmac_f32_e32 v53, v55, v60
	ds_write2_b64 v72, v[20:21], v[52:53] offset0:110 offset1:165
	ds_read2_b64 v[52:55], v119 offset0:74 offset1:129
	s_waitcnt vmcnt(6) lgkmcnt(2)
	v_mul_f32_e32 v9, v57, v63
	v_mul_f32_e32 v21, v56, v63
	v_fma_f32 v20, v56, v62, -v9
	v_fmac_f32_e32 v21, v57, v62
	s_waitcnt vmcnt(5)
	v_mul_f32_e32 v9, v59, v65
	v_mul_f32_e32 v57, v58, v65
	v_fma_f32 v56, v58, v64, -v9
	v_fmac_f32_e32 v57, v59, v64
	ds_write2_b64 v121, v[20:21], v[56:57] offset0:92 offset1:147
	s_waitcnt vmcnt(4) lgkmcnt(1)
	v_mul_f32_e32 v9, v53, v67
	v_mul_f32_e32 v21, v52, v67
	ds_read2_b64 v[56:59], v119 offset0:184 offset1:239
	v_fma_f32 v20, v52, v66, -v9
	v_fmac_f32_e32 v21, v53, v66
	s_waitcnt vmcnt(3)
	v_mul_f32_e32 v9, v55, v69
	v_mul_f32_e32 v53, v54, v69
	v_fma_f32 v52, v54, v68, -v9
	v_fmac_f32_e32 v53, v55, v68
	ds_write2_b64 v119, v[20:21], v[52:53] offset0:74 offset1:129
	ds_read_b64 v[52:53], v72 offset:4400
	s_waitcnt vmcnt(2) lgkmcnt(2)
	v_mul_f32_e32 v9, v57, v71
	v_fma_f32 v20, v56, v70, -v9
	v_mul_f32_e32 v21, v56, v71
	s_waitcnt vmcnt(0)
	v_mul_f32_e32 v9, v59, v131
	v_mul_f32_e32 v55, v58, v131
	v_fmac_f32_e32 v21, v57, v70
	v_fma_f32 v54, v58, v130, -v9
	v_fmac_f32_e32 v55, v59, v130
	ds_write2_b64 v119, v[20:21], v[54:55] offset0:184 offset1:239
	s_waitcnt lgkmcnt(1)
	v_mul_f32_e32 v9, v53, v129
	v_mul_f32_e32 v21, v52, v129
	v_fma_f32 v20, v52, v128, -v9
	v_fmac_f32_e32 v21, v53, v128
	ds_write_b64 v72, v[20:21] offset:4400
	s_waitcnt lgkmcnt(0)
	; wave barrier
	s_waitcnt lgkmcnt(0)
	ds_read2_b64 v[52:55], v72 offset1:55
	ds_read2_b64 v[62:65], v72 offset0:110 offset1:165
	ds_read2_b64 v[128:131], v121 offset0:92 offset1:147
	;; [unrolled: 1-line block ×4, first 2 shown]
	ds_read_b64 v[138:139], v72 offset:4400
	s_waitcnt lgkmcnt(5)
	v_pk_add_f32 v[20:21], v[52:53], v[54:55]
	s_waitcnt lgkmcnt(0)
	v_pk_add_f32 v[20:21], v[20:21], v[62:63]
	v_pk_add_f32 v[58:59], v[68:69], v[62:63]
	;; [unrolled: 1-line block ×5, first 2 shown]
	v_pk_add_f32 v[54:55], v[54:55], v[138:139] neg_lo:[0,1] neg_hi:[0,1]
	v_pk_add_f32 v[20:21], v[20:21], v[130:131]
	v_pk_add_f32 v[60:61], v[62:63], v[68:69] neg_lo:[0,1] neg_hi:[0,1]
	v_pk_add_f32 v[20:21], v[20:21], v[134:135]
	v_pk_add_f32 v[62:63], v[66:67], v[64:65]
	v_pk_add_f32 v[20:21], v[20:21], v[136:137]
	v_pk_add_f32 v[70:71], v[128:129], v[136:137] neg_lo:[0,1] neg_hi:[0,1]
	v_pk_add_f32 v[20:21], v[20:21], v[66:67]
	v_pk_add_f32 v[66:67], v[64:65], v[66:67] neg_lo:[0,1] neg_hi:[0,1]
	v_pk_add_f32 v[140:141], v[20:21], v[68:69]
	v_pk_mul_f32 v[20:21], v[54:55], s[10:11] op_sel_hi:[1,0]
	v_pk_add_f32 v[68:69], v[136:137], v[128:129]
	v_mov_b32_e32 v128, v58
	v_mov_b32_e32 v129, v60
	v_pk_fma_f32 v[142:143], v[56:57], s[0:1], v[20:21] op_sel:[0,0,1] op_sel_hi:[1,0,0]
	v_pk_fma_f32 v[20:21], v[56:57], s[0:1], v[20:21] op_sel:[0,0,1] op_sel_hi:[1,0,0] neg_lo:[0,0,1] neg_hi:[0,0,1]
	v_mov_b32_e32 v64, v61
	v_mov_b32_e32 v65, v59
	v_pk_mul_f32 v[128:129], v[128:129], s[34:35]
	v_mov_b32_e32 v150, v62
	v_mov_b32_e32 v151, v66
	;; [unrolled: 1-line block ×4, first 2 shown]
	v_pk_add_f32 v[132:133], v[134:135], v[130:131]
	v_pk_add_f32 v[136:137], v[130:131], v[134:135] neg_lo:[0,1] neg_hi:[0,1]
	v_pk_fma_f32 v[130:131], v[64:65], s[24:25], v[128:129] neg_lo:[1,0,0] neg_hi:[1,0,0]
	v_pk_fma_f32 v[134:135], v[64:65], s[24:25], v[128:129]
	v_mov_b32_e32 v148, v67
	v_mov_b32_e32 v149, v63
	v_pk_mul_f32 v[150:151], v[150:151], s[36:37]
	v_pk_add_f32 v[20:21], v[52:53], v[20:21]
	v_mov_b32_e32 v131, v135
	v_pk_fma_f32 v[152:153], v[148:149], s[12:13], v[150:151] neg_lo:[1,0,0] neg_hi:[1,0,0]
	v_pk_fma_f32 v[154:155], v[148:149], s[12:13], v[150:151]
	v_pk_add_f32 v[20:21], v[130:131], v[20:21]
	v_mov_b32_e32 v153, v155
	v_mov_b32_e32 v130, v68
	v_mov_b32_e32 v131, v70
	v_mov_b32_e32 v156, v71
	v_mov_b32_e32 v157, v69
	v_pk_add_f32 v[20:21], v[152:153], v[20:21]
	v_pk_mul_f32 v[152:153], v[130:131], s[28:29]
	v_mov_b32_e32 v160, v137
	v_pk_fma_f32 v[130:131], v[156:157], s[14:15], v[152:153] neg_lo:[1,0,0] neg_hi:[1,0,0]
	v_pk_fma_f32 v[158:159], v[156:157], s[14:15], v[152:153]
	v_mov_b32_e32 v161, v133
	v_mov_b32_e32 v131, v159
	v_pk_add_f32 v[20:21], v[130:131], v[20:21]
	v_mov_b32_e32 v130, v132
	v_mov_b32_e32 v131, v136
	v_pk_mul_f32 v[162:163], v[130:131], s[30:31]
	v_mov_b32_e32 v146, v142
	v_pk_fma_f32 v[130:131], v[160:161], s[16:17], v[162:163] neg_lo:[1,0,0] neg_hi:[1,0,0]
	v_pk_fma_f32 v[164:165], v[160:161], s[16:17], v[162:163]
	v_pk_fma_f32 v[64:65], v[64:65], s[24:25], v[128:129] neg_lo:[0,0,1] neg_hi:[0,0,1]
	v_mov_b32_e32 v131, v165
	v_pk_add_f32 v[20:21], v[130:131], v[20:21]
	v_pk_add_f32 v[128:129], v[52:53], v[146:147]
	v_mov_b32_e32 v135, v65
	s_mov_b32 s28, s25
	v_pk_mul_f32 v[130:131], v[54:55], s[24:25] op_sel_hi:[1,0]
	v_pk_add_f32 v[166:167], v[140:141], v[138:139]
	v_pk_mul_f32 v[64:65], v[60:61], s[14:15] op_sel_hi:[1,0]
	v_pk_add_f32 v[138:139], v[134:135], v[128:129]
	v_pk_fma_f32 v[128:129], v[56:57], s[28:29], v[130:131] op_sel:[0,0,1] op_sel_hi:[1,0,0]
	v_pk_fma_f32 v[130:131], v[56:57], s[28:29], v[130:131] op_sel:[0,0,1] op_sel_hi:[1,0,0] neg_lo:[0,0,1] neg_hi:[0,0,1]
	v_pk_fma_f32 v[134:135], v[58:59], s[8:9], v[64:65] op_sel:[0,0,1] op_sel_hi:[1,0,0]
	v_pk_fma_f32 v[64:65], v[58:59], s[8:9], v[64:65] op_sel:[0,0,1] op_sel_hi:[1,0,0] neg_lo:[0,0,1] neg_hi:[0,0,1]
	v_mov_b32_e32 v142, v128
	v_mov_b32_e32 v143, v131
	;; [unrolled: 1-line block ×4, first 2 shown]
	v_pk_add_f32 v[142:143], v[52:53], v[142:143]
	s_mov_b32 s24, s13
	v_pk_add_f32 v[142:143], v[140:141], v[142:143]
	v_pk_fma_f32 v[140:141], v[148:149], s[12:13], v[150:151] neg_lo:[0,0,1] neg_hi:[0,0,1]
	; wave barrier
	s_nop 0
	v_mov_b32_e32 v155, v141
	v_pk_add_f32 v[146:147], v[154:155], v[138:139]
	v_pk_mul_f32 v[138:139], v[66:67], s[26:27] op_sel_hi:[1,0]
	v_pk_mul_f32 v[178:179], v[60:61], s[22:23] op_sel_hi:[1,0]
	v_pk_fma_f32 v[140:141], v[62:63], s[30:31], v[138:139] op_sel:[0,0,1] op_sel_hi:[1,0,0]
	v_pk_fma_f32 v[138:139], v[62:63], s[30:31], v[138:139] op_sel:[0,0,1] op_sel_hi:[1,0,0] neg_lo:[0,0,1] neg_hi:[0,0,1]
	v_mov_b32_e32 v148, v140
	v_mov_b32_e32 v149, v139
	v_pk_add_f32 v[148:149], v[148:149], v[142:143]
	v_pk_fma_f32 v[142:143], v[156:157], s[14:15], v[152:153] neg_lo:[0,0,1] neg_hi:[0,0,1]
	v_pk_fma_f32 v[180:181], v[58:59], s[24:25], v[178:179] op_sel:[0,0,1] op_sel_hi:[1,0,0]
	v_mov_b32_e32 v159, v143
	v_pk_mul_f32 v[142:143], v[70:71], s[22:23] op_sel_hi:[1,0]
	v_pk_add_f32 v[146:147], v[158:159], v[146:147]
	v_pk_fma_f32 v[150:151], v[68:69], s[24:25], v[142:143] op_sel:[0,0,1] op_sel_hi:[1,0,0]
	v_pk_fma_f32 v[142:143], v[68:69], s[24:25], v[142:143] op_sel:[0,0,1] op_sel_hi:[1,0,0] neg_lo:[0,0,1] neg_hi:[0,0,1]
	v_mov_b32_e32 v152, v150
	v_mov_b32_e32 v153, v143
	v_pk_add_f32 v[148:149], v[152:153], v[148:149]
	v_pk_fma_f32 v[152:153], v[160:161], s[16:17], v[162:163] neg_lo:[0,0,1] neg_hi:[0,0,1]
	v_pk_mul_f32 v[160:161], v[60:61], s[26:27] op_sel_hi:[1,0]
	v_mov_b32_e32 v165, v153
	v_pk_mul_f32 v[152:153], v[136:137], s[18:19] op_sel_hi:[1,0]
	v_pk_add_f32 v[146:147], v[164:165], v[146:147]
	v_pk_fma_f32 v[154:155], v[132:133], s[0:1], v[152:153] op_sel:[0,0,1] op_sel_hi:[1,0,0]
	v_pk_fma_f32 v[152:153], v[132:133], s[0:1], v[152:153] op_sel:[0,0,1] op_sel_hi:[1,0,0] neg_lo:[0,0,1] neg_hi:[0,0,1]
	v_mov_b32_e32 v156, v154
	v_mov_b32_e32 v157, v153
	ds_write2_b64 v83, v[166:167], v[146:147] offset1:1
	v_pk_mul_f32 v[146:147], v[54:55], s[12:13] op_sel_hi:[1,0]
	v_pk_add_f32 v[148:149], v[156:157], v[148:149]
	v_pk_fma_f32 v[156:157], v[56:57], s[24:25], v[146:147] op_sel:[0,0,1] op_sel_hi:[1,0,0]
	v_pk_fma_f32 v[146:147], v[56:57], s[24:25], v[146:147] op_sel:[0,0,1] op_sel_hi:[1,0,0] neg_lo:[0,0,1] neg_hi:[0,0,1]
	v_mov_b32_e32 v158, v156
	v_mov_b32_e32 v159, v147
	v_pk_fma_f32 v[162:163], v[58:59], s[30:31], v[160:161] op_sel:[0,0,1] op_sel_hi:[1,0,0]
	v_pk_fma_f32 v[160:161], v[58:59], s[30:31], v[160:161] op_sel:[0,0,1] op_sel_hi:[1,0,0] neg_lo:[0,0,1] neg_hi:[0,0,1]
	v_pk_add_f32 v[158:159], v[52:53], v[158:159]
	v_mov_b32_e32 v164, v162
	v_mov_b32_e32 v165, v161
	v_pk_add_f32 v[158:159], v[164:165], v[158:159]
	v_pk_mul_f32 v[164:165], v[66:67], s[20:21] op_sel_hi:[1,0]
	v_pk_fma_f32 v[178:179], v[58:59], s[24:25], v[178:179] op_sel:[0,0,1] op_sel_hi:[1,0,0] neg_lo:[0,0,1] neg_hi:[0,0,1]
	v_pk_fma_f32 v[166:167], v[62:63], s[28:29], v[164:165] op_sel:[0,0,1] op_sel_hi:[1,0,0]
	v_pk_fma_f32 v[164:165], v[62:63], s[28:29], v[164:165] op_sel:[0,0,1] op_sel_hi:[1,0,0] neg_lo:[0,0,1] neg_hi:[0,0,1]
	v_mov_b32_e32 v168, v166
	v_mov_b32_e32 v169, v165
	v_pk_add_f32 v[158:159], v[168:169], v[158:159]
	v_pk_mul_f32 v[168:169], v[70:71], s[10:11] op_sel_hi:[1,0]
	v_mov_b32_e32 v182, v180
	v_pk_fma_f32 v[170:171], v[68:69], s[0:1], v[168:169] op_sel:[0,0,1] op_sel_hi:[1,0,0]
	v_pk_fma_f32 v[168:169], v[68:69], s[0:1], v[168:169] op_sel:[0,0,1] op_sel_hi:[1,0,0] neg_lo:[0,0,1] neg_hi:[0,0,1]
	v_mov_b32_e32 v172, v170
	v_mov_b32_e32 v173, v169
	v_pk_add_f32 v[158:159], v[172:173], v[158:159]
	v_pk_mul_f32 v[172:173], v[136:137], s[14:15] op_sel_hi:[1,0]
	v_mov_b32_e32 v183, v179
	v_pk_fma_f32 v[174:175], v[132:133], s[8:9], v[172:173] op_sel:[0,0,1] op_sel_hi:[1,0,0]
	v_pk_fma_f32 v[172:173], v[132:133], s[8:9], v[172:173] op_sel:[0,0,1] op_sel_hi:[1,0,0] neg_lo:[0,0,1] neg_hi:[0,0,1]
	v_mov_b32_e32 v176, v174
	v_mov_b32_e32 v177, v173
	v_pk_add_f32 v[158:159], v[176:177], v[158:159]
	ds_write2_b64 v83, v[148:149], v[158:159] offset0:2 offset1:3
	v_pk_mul_f32 v[148:149], v[54:55], s[14:15] op_sel_hi:[1,0]
	v_pk_mul_f32 v[54:55], v[54:55], s[16:17] op_sel_hi:[1,0]
	v_pk_fma_f32 v[158:159], v[56:57], s[8:9], v[148:149] op_sel:[0,0,1] op_sel_hi:[1,0,0]
	v_pk_fma_f32 v[148:149], v[56:57], s[8:9], v[148:149] op_sel:[0,0,1] op_sel_hi:[1,0,0] neg_lo:[0,0,1] neg_hi:[0,0,1]
	v_mov_b32_e32 v176, v158
	v_mov_b32_e32 v177, v149
	v_pk_add_f32 v[176:177], v[52:53], v[176:177]
	v_mov_b32_e32 v149, v159
	v_pk_add_f32 v[176:177], v[182:183], v[176:177]
	v_pk_mul_f32 v[182:183], v[66:67], s[10:11] op_sel_hi:[1,0]
	v_mov_b32_e32 v179, v181
	v_pk_fma_f32 v[184:185], v[62:63], s[0:1], v[182:183] op_sel:[0,0,1] op_sel_hi:[1,0,0]
	v_pk_fma_f32 v[182:183], v[62:63], s[0:1], v[182:183] op_sel:[0,0,1] op_sel_hi:[1,0,0] neg_lo:[0,0,1] neg_hi:[0,0,1]
	v_mov_b32_e32 v186, v184
	v_mov_b32_e32 v187, v183
	v_pk_add_f32 v[176:177], v[186:187], v[176:177]
	v_pk_mul_f32 v[186:187], v[70:71], s[16:17] op_sel_hi:[1,0]
	v_mov_b32_e32 v183, v185
	v_pk_fma_f32 v[188:189], v[68:69], s[30:31], v[186:187] op_sel:[0,0,1] op_sel_hi:[1,0,0]
	v_pk_fma_f32 v[186:187], v[68:69], s[30:31], v[186:187] op_sel:[0,0,1] op_sel_hi:[1,0,0] neg_lo:[0,0,1] neg_hi:[0,0,1]
	v_mov_b32_e32 v190, v188
	;; [unrolled: 7-line block ×3, first 2 shown]
	v_mov_b32_e32 v195, v191
	v_pk_add_f32 v[176:177], v[194:195], v[176:177]
	v_pk_fma_f32 v[194:195], v[56:57], s[30:31], v[54:55] op_sel:[0,0,1] op_sel_hi:[1,0,0]
	v_pk_fma_f32 v[54:55], v[56:57], s[30:31], v[54:55] op_sel:[0,0,1] op_sel_hi:[1,0,0] neg_lo:[0,0,1] neg_hi:[0,0,1]
	v_pk_mul_f32 v[56:57], v[60:61], s[18:19] op_sel_hi:[1,0]
	v_mov_b32_e32 v191, v193
	v_pk_fma_f32 v[60:61], v[58:59], s[0:1], v[56:57] op_sel:[0,0,1] op_sel_hi:[1,0,0]
	v_pk_fma_f32 v[56:57], v[58:59], s[0:1], v[56:57] op_sel:[0,0,1] op_sel_hi:[1,0,0] neg_lo:[0,0,1] neg_hi:[0,0,1]
	v_pk_mul_f32 v[58:59], v[66:67], s[14:15] op_sel_hi:[1,0]
	v_mov_b32_e32 v197, v57
	;; [unrolled: 4-line block ×4, first 2 shown]
	v_pk_fma_f32 v[136:137], v[132:133], s[24:25], v[68:69] op_sel:[0,0,1] op_sel_hi:[1,0,0]
	v_pk_fma_f32 v[68:69], v[132:133], s[24:25], v[68:69] op_sel:[0,0,1] op_sel_hi:[1,0,0] neg_lo:[0,0,1] neg_hi:[0,0,1]
	v_mov_b32_e32 v133, v55
	v_mov_b32_e32 v55, v195
	;; [unrolled: 1-line block ×3, first 2 shown]
	v_pk_add_f32 v[54:55], v[52:53], v[54:55]
	v_pk_add_f32 v[132:133], v[52:53], v[132:133]
	v_pk_add_f32 v[54:55], v[56:57], v[54:55]
	v_pk_add_f32 v[56:57], v[52:53], v[148:149]
	v_pk_add_f32 v[132:133], v[196:197], v[132:133]
	v_mov_b32_e32 v196, v66
	v_mov_b32_e32 v197, v59
	;; [unrolled: 1-line block ×3, first 2 shown]
	v_pk_add_f32 v[56:57], v[178:179], v[56:57]
	v_pk_add_f32 v[132:133], v[196:197], v[132:133]
	v_mov_b32_e32 v196, v70
	v_mov_b32_e32 v197, v63
	;; [unrolled: 1-line block ×3, first 2 shown]
	v_pk_add_f32 v[54:55], v[58:59], v[54:55]
	v_pk_add_f32 v[56:57], v[182:183], v[56:57]
	;; [unrolled: 1-line block ×3, first 2 shown]
	v_mov_b32_e32 v197, v69
	v_mov_b32_e32 v69, v137
	v_pk_add_f32 v[54:55], v[62:63], v[54:55]
	v_pk_add_f32 v[56:57], v[186:187], v[56:57]
	;; [unrolled: 1-line block ×4, first 2 shown]
	v_mov_b32_e32 v147, v157
	v_mov_b32_e32 v131, v129
	ds_write2_b64 v83, v[54:55], v[56:57] offset0:6 offset1:7
	v_pk_add_f32 v[54:55], v[52:53], v[146:147]
	v_mov_b32_e32 v161, v163
	v_mov_b32_e32 v65, v135
	v_pk_add_f32 v[52:53], v[52:53], v[130:131]
	v_mov_b32_e32 v165, v167
	v_pk_add_f32 v[54:55], v[160:161], v[54:55]
	v_mov_b32_e32 v139, v141
	v_pk_add_f32 v[52:53], v[64:65], v[52:53]
	v_mov_b32_e32 v169, v171
	v_pk_add_f32 v[54:55], v[164:165], v[54:55]
	v_mov_b32_e32 v143, v151
	v_pk_add_f32 v[52:53], v[138:139], v[52:53]
	v_mov_b32_e32 v196, v136
	v_mov_b32_e32 v173, v175
	v_pk_add_f32 v[54:55], v[168:169], v[54:55]
	v_mov_b32_e32 v153, v155
	v_pk_add_f32 v[52:53], v[142:143], v[52:53]
	v_pk_add_f32 v[132:133], v[196:197], v[132:133]
	;; [unrolled: 1-line block ×4, first 2 shown]
	ds_write2_b64 v83, v[176:177], v[132:133] offset0:4 offset1:5
	ds_write2_b64 v83, v[54:55], v[52:53] offset0:8 offset1:9
	ds_write_b64 v83, v[20:21] offset:80
	s_waitcnt lgkmcnt(0)
	; wave barrier
	s_waitcnt lgkmcnt(0)
	ds_read2_b64 v[52:55], v72 offset1:55
	ds_read2_b64 v[68:71], v72 offset0:121 offset1:176
	ds_read2_b64 v[64:67], v121 offset0:114 offset1:169
	ds_read2_b64 v[60:63], v119 offset0:107 offset1:162
	ds_read2_b64 v[56:59], v35 offset0:100 offset1:155
	v_mov_b32_e32 v9, v8
	v_mov_b32_e32 v130, v33
	;; [unrolled: 1-line block ×5, first 2 shown]
	s_and_saveexec_b64 s[0:1], vcc
	s_cbranch_execz .LBB0_7
; %bb.6:
	ds_read2_b64 v[20:23], v72 offset0:110 offset1:231
	ds_read2_b64 v[28:31], v119 offset0:96 offset1:217
	ds_read_b64 v[100:101], v72 offset:4752
.LBB0_7:
	s_or_b64 exec, exec, s[0:1]
	s_waitcnt lgkmcnt(3)
	v_pk_mul_f32 v[116:117], v[116:117], v[68:69]
	s_waitcnt lgkmcnt(2)
	v_pk_mul_f32 v[110:111], v[110:111], v[64:65]
	v_pk_fma_f32 v[136:137], v[24:25], v[68:69], v[116:117] op_sel:[0,0,1] op_sel_hi:[1,1,0]
	v_pk_fma_f32 v[24:25], v[24:25], v[68:69], v[116:117] op_sel:[0,0,1] op_sel_hi:[1,1,0] neg_lo:[0,0,1] neg_hi:[0,0,1]
	s_waitcnt lgkmcnt(1)
	v_pk_mul_f32 v[108:109], v[108:109], v[60:61]
	v_mov_b32_e32 v137, v25
	v_pk_fma_f32 v[24:25], v[26:27], v[64:65], v[110:111] op_sel:[0,0,1] op_sel_hi:[1,1,0]
	v_pk_fma_f32 v[26:27], v[26:27], v[64:65], v[110:111] op_sel:[0,0,1] op_sel_hi:[1,1,0] neg_lo:[0,0,1] neg_hi:[0,0,1]
	s_waitcnt lgkmcnt(0)
	v_pk_mul_f32 v[102:103], v[102:103], v[56:57]
	v_mov_b32_e32 v25, v27
	v_pk_fma_f32 v[26:27], v[16:17], v[60:61], v[108:109] op_sel:[0,0,1] op_sel_hi:[1,1,0]
	v_pk_fma_f32 v[16:17], v[16:17], v[60:61], v[108:109] op_sel:[0,0,1] op_sel_hi:[1,1,0] neg_lo:[0,0,1] neg_hi:[0,0,1]
	s_mov_b32 s8, 0x3f737871
	v_mov_b32_e32 v27, v17
	v_pk_fma_f32 v[16:17], v[18:19], v[56:57], v[102:103] op_sel:[0,0,1] op_sel_hi:[1,1,0]
	v_pk_fma_f32 v[18:19], v[18:19], v[56:57], v[102:103] op_sel:[0,0,1] op_sel_hi:[1,1,0] neg_lo:[0,0,1] neg_hi:[0,0,1]
	v_pk_add_f32 v[56:57], v[24:25], v[26:27]
	v_mov_b32_e32 v17, v19
	v_pk_add_f32 v[60:61], v[136:137], v[16:17] neg_lo:[0,1] neg_hi:[0,1]
	v_pk_fma_f32 v[56:57], v[56:57], 0.5, v[52:53] op_sel_hi:[1,0,1] neg_lo:[1,0,0] neg_hi:[1,0,0]
	v_pk_mul_f32 v[64:65], v[60:61], s[8:9] op_sel_hi:[1,0]
	v_pk_add_f32 v[68:69], v[24:25], v[26:27] neg_lo:[0,1] neg_hi:[0,1]
	s_mov_b32 s10, 0x3f167918
	v_pk_add_f32 v[108:109], v[136:137], v[24:25] neg_lo:[0,1] neg_hi:[0,1]
	v_pk_add_f32 v[110:111], v[16:17], v[26:27] neg_lo:[0,1] neg_hi:[0,1]
	v_pk_add_f32 v[18:19], v[52:53], v[136:137]
	v_pk_mul_f32 v[102:103], v[68:69], s[10:11] op_sel_hi:[1,0]
	v_pk_add_f32 v[108:109], v[108:109], v[110:111]
	v_pk_add_f32 v[110:111], v[56:57], v[64:65] op_sel:[0,1] op_sel_hi:[1,0] neg_lo:[0,1] neg_hi:[0,1]
	v_pk_add_f32 v[56:57], v[56:57], v[64:65] op_sel:[0,1] op_sel_hi:[1,0]
	v_pk_add_f32 v[18:19], v[18:19], v[24:25]
	v_pk_add_f32 v[56:57], v[56:57], v[102:103] op_sel:[0,1] op_sel_hi:[1,0]
	v_pk_add_f32 v[64:65], v[110:111], v[102:103] op_sel:[0,1] op_sel_hi:[1,0] neg_lo:[0,1] neg_hi:[0,1]
	v_pk_add_f32 v[18:19], v[18:19], v[26:27]
	s_mov_b32 s0, 0x3e9e377a
	v_mov_b32_e32 v102, v64
	v_mov_b32_e32 v103, v57
	v_pk_add_f32 v[18:19], v[18:19], v[16:17]
	v_pk_fma_f32 v[102:103], v[108:109], s[0:1], v[102:103] op_sel_hi:[1,0,1]
	s_waitcnt lgkmcnt(0)
	; wave barrier
	ds_write2_b64 v144, v[18:19], v[102:103] offset1:11
	v_pk_add_f32 v[18:19], v[136:137], v[16:17]
	v_pk_add_f32 v[24:25], v[24:25], v[136:137] neg_lo:[0,1] neg_hi:[0,1]
	v_pk_add_f32 v[16:17], v[26:27], v[16:17] neg_lo:[0,1] neg_hi:[0,1]
	v_pk_fma_f32 v[18:19], v[18:19], 0.5, v[52:53] op_sel_hi:[1,0,1] neg_lo:[1,0,0] neg_hi:[1,0,0]
	v_pk_add_f32 v[16:17], v[24:25], v[16:17]
	v_pk_mul_f32 v[24:25], v[68:69], s[8:9] op_sel_hi:[1,0]
	v_pk_mul_f32 v[26:27], v[60:61], s[10:11] op_sel_hi:[1,0]
	v_pk_add_f32 v[52:53], v[18:19], v[24:25] op_sel:[0,1] op_sel_hi:[1,0]
	v_pk_add_f32 v[18:19], v[18:19], v[24:25] op_sel:[0,1] op_sel_hi:[1,0] neg_lo:[0,1] neg_hi:[0,1]
	v_pk_add_f32 v[24:25], v[52:53], v[26:27] op_sel:[0,1] op_sel_hi:[1,0] neg_lo:[0,1] neg_hi:[0,1]
	v_pk_add_f32 v[18:19], v[18:19], v[26:27] op_sel:[0,1] op_sel_hi:[1,0]
	v_mov_b32_e32 v26, v24
	v_mov_b32_e32 v27, v19
	;; [unrolled: 1-line block ×3, first 2 shown]
	v_pk_fma_f32 v[26:27], v[16:17], s[0:1], v[26:27] op_sel_hi:[1,0,1]
	v_pk_fma_f32 v[16:17], v[16:17], s[0:1], v[18:19] op_sel_hi:[1,0,1]
	v_mov_b32_e32 v57, v65
	v_pk_mul_f32 v[114:115], v[114:115], v[70:71]
	ds_write2_b64 v144, v[26:27], v[16:17] offset0:22 offset1:33
	v_pk_fma_f32 v[16:17], v[108:109], s[0:1], v[56:57] op_sel_hi:[1,0,1]
	v_pk_mul_f32 v[112:113], v[112:113], v[66:67]
	ds_write_b64 v144, v[16:17] offset:352
	v_pk_fma_f32 v[16:17], v[12:13], v[70:71], v[114:115] op_sel:[0,0,1] op_sel_hi:[1,1,0]
	v_pk_fma_f32 v[12:13], v[12:13], v[70:71], v[114:115] op_sel:[0,0,1] op_sel_hi:[1,1,0] neg_lo:[0,0,1] neg_hi:[0,0,1]
	v_pk_mul_f32 v[106:107], v[106:107], v[62:63]
	v_mov_b32_e32 v17, v13
	v_pk_fma_f32 v[12:13], v[14:15], v[66:67], v[112:113] op_sel:[0,0,1] op_sel_hi:[1,1,0]
	v_pk_fma_f32 v[14:15], v[14:15], v[66:67], v[112:113] op_sel:[0,0,1] op_sel_hi:[1,1,0] neg_lo:[0,0,1] neg_hi:[0,0,1]
	v_pk_mul_f32 v[104:105], v[104:105], v[58:59]
	v_mov_b32_e32 v13, v15
	v_pk_fma_f32 v[14:15], v[8:9], v[62:63], v[106:107] op_sel:[0,0,1] op_sel_hi:[1,1,0]
	v_pk_fma_f32 v[8:9], v[8:9], v[62:63], v[106:107] op_sel:[0,0,1] op_sel_hi:[1,1,0] neg_lo:[0,0,1] neg_hi:[0,0,1]
	v_mov_b32_e32 v39, v38
	v_mov_b32_e32 v15, v9
	v_pk_fma_f32 v[8:9], v[10:11], v[58:59], v[104:105] op_sel:[0,0,1] op_sel_hi:[1,1,0]
	v_pk_fma_f32 v[10:11], v[10:11], v[58:59], v[104:105] op_sel:[0,0,1] op_sel_hi:[1,1,0] neg_lo:[0,0,1] neg_hi:[0,0,1]
	v_pk_add_f32 v[18:19], v[12:13], v[14:15]
	v_mov_b32_e32 v9, v11
	v_pk_add_f32 v[24:25], v[16:17], v[8:9] neg_lo:[0,1] neg_hi:[0,1]
	v_pk_fma_f32 v[18:19], v[18:19], 0.5, v[54:55] op_sel_hi:[1,0,1] neg_lo:[1,0,0] neg_hi:[1,0,0]
	v_pk_mul_f32 v[26:27], v[24:25], s[8:9] op_sel_hi:[1,0]
	v_pk_add_f32 v[52:53], v[12:13], v[14:15] neg_lo:[0,1] neg_hi:[0,1]
	v_pk_add_f32 v[58:59], v[16:17], v[12:13] neg_lo:[0,1] neg_hi:[0,1]
	;; [unrolled: 1-line block ×3, first 2 shown]
	v_pk_add_f32 v[10:11], v[54:55], v[16:17]
	v_pk_mul_f32 v[56:57], v[52:53], s[10:11] op_sel_hi:[1,0]
	v_pk_add_f32 v[58:59], v[58:59], v[60:61]
	v_pk_add_f32 v[60:61], v[18:19], v[26:27] op_sel:[0,1] op_sel_hi:[1,0] neg_lo:[0,1] neg_hi:[0,1]
	v_pk_add_f32 v[18:19], v[18:19], v[26:27] op_sel:[0,1] op_sel_hi:[1,0]
	v_pk_add_f32 v[10:11], v[10:11], v[12:13]
	v_pk_add_f32 v[18:19], v[18:19], v[56:57] op_sel:[0,1] op_sel_hi:[1,0]
	v_pk_add_f32 v[26:27], v[60:61], v[56:57] op_sel:[0,1] op_sel_hi:[1,0] neg_lo:[0,1] neg_hi:[0,1]
	v_pk_add_f32 v[10:11], v[10:11], v[14:15]
	v_mov_b32_e32 v56, v26
	v_mov_b32_e32 v57, v19
	v_pk_add_f32 v[10:11], v[10:11], v[8:9]
	v_pk_fma_f32 v[56:57], v[58:59], s[0:1], v[56:57] op_sel_hi:[1,0,1]
	ds_write2_b64 v145, v[10:11], v[56:57] offset1:11
	v_pk_add_f32 v[10:11], v[16:17], v[8:9]
	v_pk_add_f32 v[12:13], v[12:13], v[16:17] neg_lo:[0,1] neg_hi:[0,1]
	v_pk_add_f32 v[8:9], v[14:15], v[8:9] neg_lo:[0,1] neg_hi:[0,1]
	v_pk_fma_f32 v[10:11], v[10:11], 0.5, v[54:55] op_sel_hi:[1,0,1] neg_lo:[1,0,0] neg_hi:[1,0,0]
	v_pk_add_f32 v[8:9], v[12:13], v[8:9]
	v_pk_mul_f32 v[12:13], v[52:53], s[8:9] op_sel_hi:[1,0]
	v_pk_mul_f32 v[14:15], v[24:25], s[10:11] op_sel_hi:[1,0]
	v_pk_add_f32 v[16:17], v[10:11], v[12:13] op_sel:[0,1] op_sel_hi:[1,0]
	v_pk_add_f32 v[10:11], v[10:11], v[12:13] op_sel:[0,1] op_sel_hi:[1,0] neg_lo:[0,1] neg_hi:[0,1]
	v_pk_add_f32 v[12:13], v[16:17], v[14:15] op_sel:[0,1] op_sel_hi:[1,0] neg_lo:[0,1] neg_hi:[0,1]
	v_pk_add_f32 v[10:11], v[10:11], v[14:15] op_sel:[0,1] op_sel_hi:[1,0]
	v_mov_b32_e32 v14, v12
	v_mov_b32_e32 v15, v11
	;; [unrolled: 1-line block ×3, first 2 shown]
	v_pk_fma_f32 v[14:15], v[8:9], s[0:1], v[14:15] op_sel_hi:[1,0,1]
	v_pk_fma_f32 v[8:9], v[8:9], s[0:1], v[10:11] op_sel_hi:[1,0,1]
	v_mov_b32_e32 v19, v27
	v_mov_b32_e32 v127, v126
	;; [unrolled: 1-line block ×18, first 2 shown]
	ds_write2_b64 v145, v[14:15], v[8:9] offset0:22 offset1:33
	v_pk_fma_f32 v[8:9], v[58:59], s[0:1], v[18:19] op_sel_hi:[1,0,1]
	ds_write_b64 v145, v[8:9] offset:352
	s_and_saveexec_b64 s[12:13], vcc
	s_cbranch_execz .LBB0_9
; %bb.8:
	v_pk_mul_f32 v[8:9], v[6:7], v[28:29] op_sel:[0,1]
	v_mov_b32_e32 v16, 3
	v_pk_mul_f32 v[10:11], v[4:5], v[22:23] op_sel:[0,1]
	v_lshlrev_b32_sdwa v26, v16, v87 dst_sel:DWORD dst_unused:UNUSED_PAD src0_sel:DWORD src1_sel:BYTE_0
	v_pk_fma_f32 v[16:17], v[6:7], v[28:29], v[8:9] op_sel:[0,0,1] op_sel_hi:[1,1,0]
	v_pk_fma_f32 v[6:7], v[6:7], v[28:29], v[8:9] op_sel:[0,0,1] op_sel_hi:[1,0,0] neg_lo:[1,0,0] neg_hi:[1,0,0]
	v_pk_mul_f32 v[12:13], v[0:1], v[30:31] op_sel:[0,1]
	v_mov_b32_e32 v17, v7
	v_pk_fma_f32 v[6:7], v[4:5], v[22:23], v[10:11] op_sel:[0,0,1] op_sel_hi:[1,1,0]
	v_pk_fma_f32 v[4:5], v[4:5], v[22:23], v[10:11] op_sel:[0,0,1] op_sel_hi:[1,0,0] neg_lo:[1,0,0] neg_hi:[1,0,0]
	v_pk_mul_f32 v[14:15], v[2:3], v[100:101] op_sel:[0,1]
	v_mov_b32_e32 v7, v5
	v_pk_fma_f32 v[4:5], v[0:1], v[30:31], v[12:13] op_sel:[0,0,1] op_sel_hi:[1,1,0]
	v_pk_fma_f32 v[0:1], v[0:1], v[30:31], v[12:13] op_sel:[0,0,1] op_sel_hi:[1,0,0] neg_lo:[1,0,0] neg_hi:[1,0,0]
	v_pk_add_f32 v[22:23], v[6:7], v[16:17] neg_lo:[0,1] neg_hi:[0,1]
	v_mov_b32_e32 v5, v1
	v_pk_fma_f32 v[0:1], v[2:3], v[100:101], v[14:15] op_sel:[0,0,1] op_sel_hi:[1,1,0]
	v_pk_fma_f32 v[2:3], v[2:3], v[100:101], v[14:15] op_sel:[0,0,1] op_sel_hi:[1,0,0] neg_lo:[1,0,0] neg_hi:[1,0,0]
	v_pk_add_f32 v[12:13], v[16:17], v[4:5]
	v_mov_b32_e32 v1, v3
	v_pk_add_f32 v[10:11], v[6:7], v[0:1] neg_lo:[0,1] neg_hi:[0,1]
	v_pk_add_f32 v[8:9], v[16:17], v[4:5] neg_lo:[0,1] neg_hi:[0,1]
	v_pk_fma_f32 v[12:13], v[12:13], 0.5, v[20:21] op_sel_hi:[1,0,1] neg_lo:[1,0,0] neg_hi:[1,0,0]
	v_pk_mul_f32 v[14:15], v[10:11], s[8:9] op_sel_hi:[1,0]
	v_pk_add_f32 v[24:25], v[0:1], v[4:5] neg_lo:[0,1] neg_hi:[0,1]
	v_pk_add_f32 v[2:3], v[20:21], v[6:7]
	v_pk_mul_f32 v[18:19], v[8:9], s[10:11] op_sel_hi:[1,0]
	v_pk_add_f32 v[22:23], v[22:23], v[24:25]
	v_pk_add_f32 v[24:25], v[12:13], v[14:15] op_sel:[0,1] op_sel_hi:[1,0] neg_lo:[0,1] neg_hi:[0,1]
	v_pk_add_f32 v[12:13], v[12:13], v[14:15] op_sel:[0,1] op_sel_hi:[1,0]
	v_pk_add_f32 v[2:3], v[2:3], v[16:17]
	v_pk_add_f32 v[12:13], v[12:13], v[18:19] op_sel:[0,1] op_sel_hi:[1,0]
	v_pk_add_f32 v[14:15], v[24:25], v[18:19] op_sel:[0,1] op_sel_hi:[1,0] neg_lo:[0,1] neg_hi:[0,1]
	v_pk_add_f32 v[2:3], v[2:3], v[4:5]
	v_mov_b32_e32 v18, v14
	v_mov_b32_e32 v19, v13
	v_pk_add_f32 v[2:3], v[2:3], v[0:1]
	v_pk_fma_f32 v[18:19], v[22:23], s[0:1], v[18:19] op_sel_hi:[1,0,1]
	v_add_u32_e32 v13, 0x1000, v26
	ds_write2_b64 v13, v[2:3], v[18:19] offset0:38 offset1:49
	v_pk_add_f32 v[2:3], v[16:17], v[6:7] neg_lo:[0,1] neg_hi:[0,1]
	v_pk_add_f32 v[4:5], v[4:5], v[0:1] neg_lo:[0,1] neg_hi:[0,1]
	v_pk_add_f32 v[0:1], v[6:7], v[0:1]
	v_pk_add_f32 v[2:3], v[2:3], v[4:5]
	v_pk_fma_f32 v[0:1], v[0:1], 0.5, v[20:21] op_sel_hi:[1,0,1] neg_lo:[1,0,0] neg_hi:[1,0,0]
	v_pk_mul_f32 v[4:5], v[8:9], s[8:9] op_sel_hi:[1,0]
	v_pk_mul_f32 v[6:7], v[10:11], s[10:11] op_sel_hi:[1,0]
	v_pk_add_f32 v[8:9], v[0:1], v[4:5] op_sel:[0,1] op_sel_hi:[1,0]
	v_pk_add_f32 v[0:1], v[0:1], v[4:5] op_sel:[0,1] op_sel_hi:[1,0] neg_lo:[0,1] neg_hi:[0,1]
	v_pk_add_f32 v[4:5], v[8:9], v[6:7] op_sel:[0,1] op_sel_hi:[1,0] neg_lo:[0,1] neg_hi:[0,1]
	v_pk_add_f32 v[0:1], v[0:1], v[6:7] op_sel:[0,1] op_sel_hi:[1,0]
	v_mov_b32_e32 v6, v4
	v_mov_b32_e32 v7, v1
	;; [unrolled: 1-line block ×3, first 2 shown]
	v_pk_fma_f32 v[6:7], v[2:3], s[0:1], v[6:7] op_sel_hi:[1,0,1]
	v_pk_fma_f32 v[0:1], v[2:3], s[0:1], v[0:1] op_sel_hi:[1,0,1]
	ds_write2_b64 v13, v[6:7], v[0:1] offset0:60 offset1:71
	v_mov_b32_e32 v13, v15
	v_pk_fma_f32 v[0:1], v[22:23], s[0:1], v[12:13] op_sel_hi:[1,0,1]
	ds_write_b64 v26, v[0:1] offset:4752
.LBB0_9:
	s_or_b64 exec, exec, s[12:13]
	s_waitcnt lgkmcnt(0)
	; wave barrier
	s_waitcnt lgkmcnt(0)
	ds_read2_b64 v[10:13], v72 offset0:110 offset1:165
	ds_read2_b64 v[0:3], v72 offset1:55
	v_add_u32_e32 v9, 0x400, v72
	ds_read2_b64 v[14:17], v9 offset0:92 offset1:147
	v_add_u32_e32 v8, 0x800, v72
	s_waitcnt lgkmcnt(2)
	v_pk_mul_f32 v[28:29], v[126:127], v[10:11]
	ds_read2_b64 v[18:21], v8 offset0:74 offset1:129
	ds_read2_b64 v[22:25], v8 offset0:184 offset1:239
	ds_read_b64 v[26:27], v72 offset:4400
	v_pk_fma_f32 v[30:31], v[38:39], v[10:11], v[28:29] op_sel:[0,0,1] op_sel_hi:[1,1,0]
	v_pk_fma_f32 v[10:11], v[38:39], v[10:11], v[28:29] op_sel:[0,0,1] op_sel_hi:[1,1,0] neg_lo:[0,0,1] neg_hi:[0,0,1]
	v_mad_u64_u32 v[6:7], s[0:1], s6, v82, 0
	v_mov_b32_e32 v31, v11
	v_pk_mul_f32 v[10:11], v[134:135], v[12:13]
	s_mov_b32 s10, 0xbf0a6770
	v_pk_fma_f32 v[28:29], v[48:49], v[12:13], v[10:11] op_sel:[0,0,1] op_sel_hi:[1,1,0]
	v_pk_fma_f32 v[10:11], v[48:49], v[12:13], v[10:11] op_sel:[0,0,1] op_sel_hi:[1,1,0] neg_lo:[0,0,1] neg_hi:[0,0,1]
	s_mov_b32 s0, 0x3f575c64
	v_mov_b32_e32 v29, v11
	s_waitcnt lgkmcnt(3)
	v_pk_mul_f32 v[10:11], v[124:125], v[14:15]
	s_mov_b32 s20, 0xbf68dda4
	v_pk_fma_f32 v[12:13], v[50:51], v[14:15], v[10:11] op_sel:[0,0,1] op_sel_hi:[1,1,0]
	v_pk_fma_f32 v[10:11], v[50:51], v[14:15], v[10:11] op_sel:[0,0,1] op_sel_hi:[1,1,0] neg_lo:[0,0,1] neg_hi:[0,0,1]
	v_mov_b32_e32 v4, s2
	v_mov_b32_e32 v13, v11
	v_pk_mul_f32 v[10:11], v[132:133], v[16:17]
	s_mov_b32 s2, 0x3ed4b147
	v_pk_fma_f32 v[14:15], v[40:41], v[16:17], v[10:11] op_sel:[0,0,1] op_sel_hi:[1,1,0]
	v_pk_fma_f32 v[10:11], v[40:41], v[16:17], v[10:11] op_sel:[0,0,1] op_sel_hi:[1,1,0] neg_lo:[0,0,1] neg_hi:[0,0,1]
	s_mov_b32 s8, 0xbf7d64f0
	v_mov_b32_e32 v15, v11
	s_waitcnt lgkmcnt(2)
	v_pk_mul_f32 v[10:11], v[122:123], v[18:19]
	s_mov_b32 s6, 0xbe11bafb
	v_pk_fma_f32 v[16:17], v[42:43], v[18:19], v[10:11] op_sel:[0,0,1] op_sel_hi:[1,1,0]
	v_pk_fma_f32 v[10:11], v[42:43], v[18:19], v[10:11] op_sel:[0,0,1] op_sel_hi:[1,1,0] neg_lo:[0,0,1] neg_hi:[0,0,1]
	s_mov_b32 s14, 0xbf4178ce
	v_mov_b32_e32 v17, v11
	v_pk_mul_f32 v[10:11], v[130:131], v[20:21]
	s_mov_b32 s12, 0xbf27a4f4
	v_pk_fma_f32 v[18:19], v[32:33], v[20:21], v[10:11] op_sel:[0,0,1] op_sel_hi:[1,1,0]
	v_pk_fma_f32 v[10:11], v[32:33], v[20:21], v[10:11] op_sel:[0,0,1] op_sel_hi:[1,1,0] neg_lo:[0,0,1] neg_hi:[0,0,1]
	s_mov_b32 s18, 0xbe903f40
	v_mov_b32_e32 v19, v11
	s_waitcnt lgkmcnt(1)
	v_pk_mul_f32 v[10:11], v[120:121], v[22:23]
	s_mov_b32 s16, 0xbf75a155
	v_pk_fma_f32 v[20:21], v[34:35], v[22:23], v[10:11] op_sel:[0,0,1] op_sel_hi:[1,1,0]
	v_pk_fma_f32 v[10:11], v[34:35], v[22:23], v[10:11] op_sel:[0,0,1] op_sel_hi:[1,1,0] neg_lo:[0,0,1] neg_hi:[0,0,1]
	s_mov_b32 s24, 0x3f0a6770
	v_mov_b32_e32 v21, v11
	v_pk_mul_f32 v[10:11], v[128:129], v[24:25]
	v_mov_b32_e32 v5, s3
	v_pk_fma_f32 v[22:23], v[44:45], v[24:25], v[10:11] op_sel:[0,0,1] op_sel_hi:[1,1,0]
	v_pk_fma_f32 v[10:11], v[44:45], v[24:25], v[10:11] op_sel:[0,0,1] op_sel_hi:[1,1,0] neg_lo:[0,0,1] neg_hi:[0,0,1]
	s_nop 0
	v_mov_b32_e32 v23, v11
	s_waitcnt lgkmcnt(0)
	v_pk_mul_f32 v[10:11], v[118:119], v[26:27]
	s_nop 0
	v_pk_fma_f32 v[24:25], v[46:47], v[26:27], v[10:11] op_sel:[0,0,1] op_sel_hi:[1,1,0]
	v_pk_fma_f32 v[10:11], v[46:47], v[26:27], v[10:11] op_sel:[0,0,1] op_sel_hi:[1,1,0] neg_lo:[0,0,1] neg_hi:[0,0,1]
	s_nop 0
	v_mov_b32_e32 v25, v11
	v_pk_mul_f32 v[10:11], v[36:37], v[2:3] op_sel:[1,0]
	s_nop 0
	v_pk_fma_f32 v[26:27], v[36:37], v[2:3], v[10:11] op_sel:[0,0,1] op_sel_hi:[1,1,0]
	v_pk_fma_f32 v[2:3], v[36:37], v[2:3], v[10:11] op_sel:[0,0,1] op_sel_hi:[0,1,0] neg_lo:[0,0,1] neg_hi:[0,0,1]
	v_mov_b32_e32 v27, v3
	v_pk_add_f32 v[2:3], v[0:1], v[26:27]
	v_pk_add_f32 v[10:11], v[26:27], v[24:25]
	;; [unrolled: 1-line block ×5, first 2 shown]
	s_nop 0
	v_pk_add_f32 v[2:3], v[2:3], v[12:13]
	s_nop 0
	v_pk_add_f32 v[2:3], v[2:3], v[14:15]
	;; [unrolled: 2-line block ×6, first 2 shown]
	v_pk_add_f32 v[22:23], v[30:31], v[22:23] neg_lo:[0,1] neg_hi:[0,1]
	v_pk_add_f32 v[2:3], v[2:3], v[24:25]
	v_pk_add_f32 v[24:25], v[26:27], v[24:25] neg_lo:[0,1] neg_hi:[0,1]
	v_pk_mul_f32 v[30:31], v[22:23], s[20:21] op_sel_hi:[1,0]
	v_pk_mul_f32 v[26:27], v[24:25], s[10:11] op_sel_hi:[1,0]
	v_pk_fma_f32 v[38:39], v[36:37], s[2:3], v[30:31] op_sel:[0,0,1] op_sel_hi:[1,0,0]
	v_pk_fma_f32 v[32:33], v[10:11], s[0:1], v[26:27] op_sel:[0,0,1] op_sel_hi:[1,0,0]
	v_pk_fma_f32 v[26:27], v[10:11], s[0:1], v[26:27] op_sel:[0,0,1] op_sel_hi:[1,0,0] neg_lo:[0,0,1] neg_hi:[0,0,1]
	v_mov_b32_e32 v34, v32
	v_mov_b32_e32 v35, v27
	v_pk_fma_f32 v[30:31], v[36:37], s[2:3], v[30:31] op_sel:[0,0,1] op_sel_hi:[1,0,0] neg_lo:[0,0,1] neg_hi:[0,0,1]
	v_pk_add_f32 v[34:35], v[0:1], v[34:35]
	v_mov_b32_e32 v40, v38
	v_mov_b32_e32 v41, v31
	v_pk_add_f32 v[34:35], v[40:41], v[34:35]
	v_pk_add_f32 v[40:41], v[28:29], v[20:21]
	v_pk_add_f32 v[20:21], v[28:29], v[20:21] neg_lo:[0,1] neg_hi:[0,1]
	v_pk_mul_f32 v[54:55], v[22:23], s[14:15] op_sel_hi:[1,0]
	v_pk_mul_f32 v[28:29], v[20:21], s[8:9] op_sel_hi:[1,0]
	v_pk_fma_f32 v[56:57], v[36:37], s[12:13], v[54:55] op_sel:[0,0,1] op_sel_hi:[1,0,0]
	v_pk_fma_f32 v[42:43], v[40:41], s[6:7], v[28:29] op_sel:[0,0,1] op_sel_hi:[1,0,0]
	v_pk_fma_f32 v[28:29], v[40:41], s[6:7], v[28:29] op_sel:[0,0,1] op_sel_hi:[1,0,0] neg_lo:[0,0,1] neg_hi:[0,0,1]
	v_mov_b32_e32 v44, v42
	v_mov_b32_e32 v45, v29
	v_pk_add_f32 v[34:35], v[44:45], v[34:35]
	v_pk_add_f32 v[44:45], v[12:13], v[18:19]
	v_pk_add_f32 v[12:13], v[12:13], v[18:19] neg_lo:[0,1] neg_hi:[0,1]
	v_pk_fma_f32 v[54:55], v[36:37], s[12:13], v[54:55] op_sel:[0,0,1] op_sel_hi:[1,0,0] neg_lo:[0,0,1] neg_hi:[0,0,1]
	v_pk_mul_f32 v[18:19], v[12:13], s[14:15] op_sel_hi:[1,0]
	v_mov_b32_e32 v58, v56
	v_pk_fma_f32 v[46:47], v[44:45], s[12:13], v[18:19] op_sel:[0,0,1] op_sel_hi:[1,0,0]
	v_pk_fma_f32 v[18:19], v[44:45], s[12:13], v[18:19] op_sel:[0,0,1] op_sel_hi:[1,0,0] neg_lo:[0,0,1] neg_hi:[0,0,1]
	v_mov_b32_e32 v48, v46
	v_mov_b32_e32 v49, v19
	v_pk_add_f32 v[34:35], v[48:49], v[34:35]
	v_pk_add_f32 v[48:49], v[14:15], v[16:17]
	v_pk_add_f32 v[14:15], v[14:15], v[16:17] neg_lo:[0,1] neg_hi:[0,1]
	v_mov_b32_e32 v59, v55
	v_pk_mul_f32 v[16:17], v[14:15], s[18:19] op_sel_hi:[1,0]
	v_pk_mul_f32 v[122:123], v[22:23], s[22:23] op_sel_hi:[1,0]
	v_pk_fma_f32 v[50:51], v[48:49], s[16:17], v[16:17] op_sel:[0,0,1] op_sel_hi:[1,0,0]
	v_pk_fma_f32 v[16:17], v[48:49], s[16:17], v[16:17] op_sel:[0,0,1] op_sel_hi:[1,0,0] neg_lo:[0,0,1] neg_hi:[0,0,1]
	v_mov_b32_e32 v52, v50
	v_mov_b32_e32 v53, v17
	v_pk_add_f32 v[34:35], v[52:53], v[34:35]
	ds_write2_b64 v72, v[2:3], v[34:35] offset1:55
	v_pk_mul_f32 v[2:3], v[24:25], s[20:21] op_sel_hi:[1,0]
	s_mov_b32 s20, 0x3e903f40
	v_pk_fma_f32 v[34:35], v[10:11], s[2:3], v[2:3] op_sel:[0,0,1] op_sel_hi:[1,0,0]
	v_pk_fma_f32 v[2:3], v[10:11], s[2:3], v[2:3] op_sel:[0,0,1] op_sel_hi:[1,0,0] neg_lo:[0,0,1] neg_hi:[0,0,1]
	v_mov_b32_e32 v52, v34
	v_mov_b32_e32 v53, v3
	v_pk_add_f32 v[52:53], v[0:1], v[52:53]
	v_pk_mul_f32 v[104:105], v[22:23], s[20:21] op_sel_hi:[1,0]
	v_pk_add_f32 v[52:53], v[58:59], v[52:53]
	v_pk_mul_f32 v[58:59], v[20:21], s[20:21] op_sel_hi:[1,0]
	v_pk_fma_f32 v[106:107], v[36:37], s[16:17], v[104:105] op_sel:[0,0,1] op_sel_hi:[1,0,0]
	v_pk_fma_f32 v[60:61], v[40:41], s[16:17], v[58:59] op_sel:[0,0,1] op_sel_hi:[1,0,0]
	v_pk_fma_f32 v[58:59], v[40:41], s[16:17], v[58:59] op_sel:[0,0,1] op_sel_hi:[1,0,0] neg_lo:[0,0,1] neg_hi:[0,0,1]
	v_mov_b32_e32 v62, v60
	v_mov_b32_e32 v63, v59
	v_pk_add_f32 v[52:53], v[62:63], v[52:53]
	v_pk_mul_f32 v[62:63], v[12:13], s[22:23] op_sel_hi:[1,0]
	v_pk_fma_f32 v[104:105], v[36:37], s[16:17], v[104:105] op_sel:[0,0,1] op_sel_hi:[1,0,0] neg_lo:[0,0,1] neg_hi:[0,0,1]
	v_pk_fma_f32 v[64:65], v[44:45], s[6:7], v[62:63] op_sel:[0,0,1] op_sel_hi:[1,0,0]
	v_pk_fma_f32 v[62:63], v[44:45], s[6:7], v[62:63] op_sel:[0,0,1] op_sel_hi:[1,0,0] neg_lo:[0,0,1] neg_hi:[0,0,1]
	v_mov_b32_e32 v66, v64
	v_mov_b32_e32 v67, v63
	v_pk_add_f32 v[52:53], v[66:67], v[52:53]
	v_pk_mul_f32 v[66:67], v[14:15], s[24:25] op_sel_hi:[1,0]
	v_mov_b32_e32 v108, v106
	v_pk_fma_f32 v[68:69], v[48:49], s[0:1], v[66:67] op_sel:[0,0,1] op_sel_hi:[1,0,0]
	v_pk_fma_f32 v[66:67], v[48:49], s[0:1], v[66:67] op_sel:[0,0,1] op_sel_hi:[1,0,0] neg_lo:[0,0,1] neg_hi:[0,0,1]
	v_mov_b32_e32 v70, v68
	v_mov_b32_e32 v71, v67
	v_pk_add_f32 v[52:53], v[70:71], v[52:53]
	v_pk_mul_f32 v[70:71], v[24:25], s[8:9] op_sel_hi:[1,0]
	v_mov_b32_e32 v109, v105
	v_pk_fma_f32 v[100:101], v[10:11], s[6:7], v[70:71] op_sel:[0,0,1] op_sel_hi:[1,0,0]
	v_pk_fma_f32 v[70:71], v[10:11], s[6:7], v[70:71] op_sel:[0,0,1] op_sel_hi:[1,0,0] neg_lo:[0,0,1] neg_hi:[0,0,1]
	v_mov_b32_e32 v102, v100
	v_mov_b32_e32 v103, v71
	v_pk_add_f32 v[102:103], v[0:1], v[102:103]
	s_mov_b32 s20, 0x3f68dda4
	v_pk_add_f32 v[102:103], v[108:109], v[102:103]
	v_pk_mul_f32 v[108:109], v[20:21], s[20:21] op_sel_hi:[1,0]
	v_pk_fma_f32 v[124:125], v[36:37], s[6:7], v[122:123] op_sel:[0,0,1] op_sel_hi:[1,0,0]
	v_pk_fma_f32 v[110:111], v[40:41], s[2:3], v[108:109] op_sel:[0,0,1] op_sel_hi:[1,0,0]
	v_pk_fma_f32 v[108:109], v[40:41], s[2:3], v[108:109] op_sel:[0,0,1] op_sel_hi:[1,0,0] neg_lo:[0,0,1] neg_hi:[0,0,1]
	v_mov_b32_e32 v112, v110
	v_mov_b32_e32 v113, v109
	v_pk_add_f32 v[102:103], v[112:113], v[102:103]
	v_pk_mul_f32 v[112:113], v[12:13], s[10:11] op_sel_hi:[1,0]
	v_pk_fma_f32 v[122:123], v[36:37], s[6:7], v[122:123] op_sel:[0,0,1] op_sel_hi:[1,0,0] neg_lo:[0,0,1] neg_hi:[0,0,1]
	v_pk_fma_f32 v[114:115], v[44:45], s[0:1], v[112:113] op_sel:[0,0,1] op_sel_hi:[1,0,0]
	v_pk_fma_f32 v[112:113], v[44:45], s[0:1], v[112:113] op_sel:[0,0,1] op_sel_hi:[1,0,0] neg_lo:[0,0,1] neg_hi:[0,0,1]
	v_mov_b32_e32 v116, v114
	v_mov_b32_e32 v117, v113
	v_pk_add_f32 v[102:103], v[116:117], v[102:103]
	v_pk_mul_f32 v[116:117], v[14:15], s[14:15] op_sel_hi:[1,0]
	v_mov_b32_e32 v126, v124
	v_pk_fma_f32 v[118:119], v[48:49], s[12:13], v[116:117] op_sel:[0,0,1] op_sel_hi:[1,0,0]
	v_pk_fma_f32 v[116:117], v[48:49], s[12:13], v[116:117] op_sel:[0,0,1] op_sel_hi:[1,0,0] neg_lo:[0,0,1] neg_hi:[0,0,1]
	v_mov_b32_e32 v120, v118
	v_mov_b32_e32 v121, v117
	v_pk_add_f32 v[102:103], v[120:121], v[102:103]
	ds_write2_b64 v72, v[52:53], v[102:103] offset0:110 offset1:165
	v_pk_mul_f32 v[52:53], v[24:25], s[14:15] op_sel_hi:[1,0]
	v_mov_b32_e32 v127, v123
	v_pk_fma_f32 v[102:103], v[10:11], s[12:13], v[52:53] op_sel:[0,0,1] op_sel_hi:[1,0,0]
	v_pk_fma_f32 v[52:53], v[10:11], s[12:13], v[52:53] op_sel:[0,0,1] op_sel_hi:[1,0,0] neg_lo:[0,0,1] neg_hi:[0,0,1]
	v_mov_b32_e32 v120, v102
	v_mov_b32_e32 v121, v53
	v_pk_add_f32 v[120:121], v[0:1], v[120:121]
	v_pk_mul_f32 v[24:25], v[24:25], s[18:19] op_sel_hi:[1,0]
	v_pk_add_f32 v[120:121], v[126:127], v[120:121]
	v_pk_mul_f32 v[126:127], v[20:21], s[10:11] op_sel_hi:[1,0]
	v_pk_mul_f32 v[22:23], v[22:23], s[24:25] op_sel_hi:[1,0]
	v_pk_fma_f32 v[128:129], v[40:41], s[0:1], v[126:127] op_sel:[0,0,1] op_sel_hi:[1,0,0]
	v_pk_fma_f32 v[126:127], v[40:41], s[0:1], v[126:127] op_sel:[0,0,1] op_sel_hi:[1,0,0] neg_lo:[0,0,1] neg_hi:[0,0,1]
	v_mov_b32_e32 v130, v128
	v_mov_b32_e32 v131, v127
	v_pk_add_f32 v[120:121], v[130:131], v[120:121]
	v_pk_mul_f32 v[130:131], v[12:13], s[18:19] op_sel_hi:[1,0]
	v_pk_fma_f32 v[140:141], v[36:37], s[0:1], v[22:23] op_sel:[0,0,1] op_sel_hi:[1,0,0]
	v_pk_fma_f32 v[132:133], v[44:45], s[16:17], v[130:131] op_sel:[0,0,1] op_sel_hi:[1,0,0]
	v_pk_fma_f32 v[130:131], v[44:45], s[16:17], v[130:131] op_sel:[0,0,1] op_sel_hi:[1,0,0] neg_lo:[0,0,1] neg_hi:[0,0,1]
	v_mov_b32_e32 v134, v132
	v_mov_b32_e32 v135, v131
	v_pk_add_f32 v[120:121], v[134:135], v[120:121]
	v_pk_mul_f32 v[134:135], v[14:15], s[20:21] op_sel_hi:[1,0]
	v_pk_fma_f32 v[22:23], v[36:37], s[0:1], v[22:23] op_sel:[0,0,1] op_sel_hi:[1,0,0] neg_lo:[0,0,1] neg_hi:[0,0,1]
	v_pk_fma_f32 v[136:137], v[48:49], s[2:3], v[134:135] op_sel:[0,0,1] op_sel_hi:[1,0,0]
	v_pk_fma_f32 v[134:135], v[48:49], s[2:3], v[134:135] op_sel:[0,0,1] op_sel_hi:[1,0,0] neg_lo:[0,0,1] neg_hi:[0,0,1]
	v_mov_b32_e32 v138, v136
	v_mov_b32_e32 v139, v135
	v_pk_add_f32 v[120:121], v[138:139], v[120:121]
	v_pk_fma_f32 v[138:139], v[10:11], s[16:17], v[24:25] op_sel:[0,0,1] op_sel_hi:[1,0,0]
	v_pk_fma_f32 v[10:11], v[10:11], s[16:17], v[24:25] op_sel:[0,0,1] op_sel_hi:[1,0,0] neg_lo:[0,0,1] neg_hi:[0,0,1]
	v_mov_b32_e32 v24, v138
	v_mov_b32_e32 v25, v11
	v_pk_add_f32 v[24:25], v[0:1], v[24:25]
	v_mov_b32_e32 v36, v140
	v_mov_b32_e32 v37, v23
	v_pk_mul_f32 v[20:21], v[20:21], s[14:15] op_sel_hi:[1,0]
	v_pk_add_f32 v[24:25], v[36:37], v[24:25]
	v_pk_fma_f32 v[36:37], v[40:41], s[12:13], v[20:21] op_sel:[0,0,1] op_sel_hi:[1,0,0]
	v_pk_fma_f32 v[20:21], v[40:41], s[12:13], v[20:21] op_sel:[0,0,1] op_sel_hi:[1,0,0] neg_lo:[0,0,1] neg_hi:[0,0,1]
	v_mov_b32_e32 v11, v139
	v_mov_b32_e32 v40, v36
	;; [unrolled: 1-line block ×3, first 2 shown]
	v_pk_mul_f32 v[12:13], v[12:13], s[20:21] op_sel_hi:[1,0]
	v_pk_add_f32 v[10:11], v[0:1], v[10:11]
	v_mov_b32_e32 v23, v141
	v_pk_add_f32 v[24:25], v[40:41], v[24:25]
	v_pk_fma_f32 v[40:41], v[44:45], s[2:3], v[12:13] op_sel:[0,0,1] op_sel_hi:[1,0,0]
	v_pk_fma_f32 v[12:13], v[44:45], s[2:3], v[12:13] op_sel:[0,0,1] op_sel_hi:[1,0,0] neg_lo:[0,0,1] neg_hi:[0,0,1]
	v_pk_add_f32 v[10:11], v[22:23], v[10:11]
	v_mov_b32_e32 v21, v37
	v_mov_b32_e32 v45, v13
	v_pk_add_f32 v[10:11], v[20:21], v[10:11]
	v_mov_b32_e32 v13, v41
	v_mov_b32_e32 v53, v103
	v_pk_add_f32 v[10:11], v[12:13], v[10:11]
	v_pk_add_f32 v[12:13], v[0:1], v[52:53]
	v_mov_b32_e32 v123, v125
	v_mov_b32_e32 v44, v40
	v_pk_mul_f32 v[14:15], v[14:15], s[8:9] op_sel_hi:[1,0]
	v_pk_add_f32 v[12:13], v[122:123], v[12:13]
	v_mov_b32_e32 v127, v129
	v_pk_add_f32 v[24:25], v[44:45], v[24:25]
	v_pk_fma_f32 v[44:45], v[48:49], s[6:7], v[14:15] op_sel:[0,0,1] op_sel_hi:[1,0,0]
	v_pk_fma_f32 v[14:15], v[48:49], s[6:7], v[14:15] op_sel:[0,0,1] op_sel_hi:[1,0,0] neg_lo:[0,0,1] neg_hi:[0,0,1]
	v_pk_add_f32 v[12:13], v[126:127], v[12:13]
	v_mov_b32_e32 v131, v133
	v_mov_b32_e32 v49, v15
	;; [unrolled: 1-line block ×3, first 2 shown]
	v_pk_add_f32 v[12:13], v[130:131], v[12:13]
	v_mov_b32_e32 v135, v137
	v_pk_add_f32 v[10:11], v[14:15], v[10:11]
	v_pk_add_f32 v[12:13], v[134:135], v[12:13]
	v_mov_b32_e32 v71, v101
	v_mov_b32_e32 v3, v35
	;; [unrolled: 1-line block ×3, first 2 shown]
	ds_write2_b64 v8, v[10:11], v[12:13] offset0:74 offset1:129
	v_pk_add_f32 v[10:11], v[0:1], v[70:71]
	v_mov_b32_e32 v105, v107
	v_pk_add_f32 v[2:3], v[0:1], v[2:3]
	v_mov_b32_e32 v55, v57
	;; [unrolled: 2-line block ×9, first 2 shown]
	v_mov_b32_e32 v48, v44
	v_pk_add_f32 v[10:11], v[112:113], v[10:11]
	v_mov_b32_e32 v117, v119
	v_pk_add_f32 v[2:3], v[62:63], v[2:3]
	;; [unrolled: 2-line block ×4, first 2 shown]
	v_pk_add_f32 v[10:11], v[116:117], v[10:11]
	v_pk_add_f32 v[2:3], v[66:67], v[2:3]
	;; [unrolled: 1-line block ×3, first 2 shown]
	ds_write2_b64 v9, v[120:121], v[24:25] offset0:92 offset1:147
	ds_write2_b64 v8, v[10:11], v[2:3] offset0:184 offset1:239
	ds_write_b64 v72, v[0:1] offset:4400
	s_waitcnt lgkmcnt(0)
	; wave barrier
	s_waitcnt lgkmcnt(0)
	ds_read2_b64 v[0:3], v72 offset1:55
	v_mov_b32_e32 v10, v7
	v_mad_u64_u32 v[10:11], s[0:1], s7, v82, v[10:11]
	v_mov_b32_e32 v7, v10
	s_waitcnt lgkmcnt(0)
	v_mul_f32_e32 v10, v99, v1
	v_fmac_f32_e32 v10, v98, v0
	v_mul_f32_e32 v0, v99, v0
	s_mov_b32 s0, 0xdfd760e6
	v_fma_f32 v0, v98, v1, -v0
	v_cvt_f64_f32_e32 v[10:11], v10
	s_mov_b32 s1, 0x3f5b14bb
	v_cvt_f64_f32_e32 v[0:1], v0
	v_mul_f64 v[10:11], v[10:11], s[0:1]
	v_mul_f64 v[0:1], v[0:1], s[0:1]
	v_cvt_f32_f64_e32 v10, v[10:11]
	v_cvt_f32_f64_e32 v11, v[0:1]
	v_mad_u64_u32 v[0:1], s[2:3], s4, v86, 0
	v_mov_b32_e32 v12, v1
	v_mad_u64_u32 v[12:13], s[2:3], s5, v86, v[12:13]
	v_mov_b32_e32 v1, v12
	v_lshl_add_u64 v[4:5], v[6:7], 3, v[4:5]
	v_lshl_add_u64 v[4:5], v[0:1], 3, v[4:5]
	v_mul_f32_e32 v0, v97, v3
	v_fmac_f32_e32 v0, v96, v2
	v_cvt_f64_f32_e32 v[0:1], v0
	v_mul_f64 v[0:1], v[0:1], s[0:1]
	v_cvt_f32_f64_e32 v6, v[0:1]
	v_mul_f32_e32 v0, v97, v2
	v_fma_f32 v0, v96, v3, -v0
	v_cvt_f64_f32_e32 v[0:1], v0
	v_mul_f64 v[0:1], v[0:1], s[0:1]
	v_cvt_f32_f64_e32 v7, v[0:1]
	ds_read2_b64 v[0:3], v72 offset0:110 offset1:165
	global_store_dwordx2 v[4:5], v[10:11], off
	v_mov_b32_e32 v10, 0x1b8
	v_mad_u64_u32 v[4:5], s[2:3], s4, v10, v[4:5]
	s_mulk_i32 s5, 0x1b8
	v_add_u32_e32 v5, s5, v5
	global_store_dwordx2 v[4:5], v[6:7], off
	s_waitcnt lgkmcnt(0)
	v_mul_f32_e32 v6, v93, v1
	v_fmac_f32_e32 v6, v92, v0
	v_mul_f32_e32 v0, v93, v0
	v_fma_f32 v0, v92, v1, -v0
	v_cvt_f64_f32_e32 v[6:7], v6
	v_cvt_f64_f32_e32 v[0:1], v0
	v_mul_f64 v[6:7], v[6:7], s[0:1]
	v_mul_f64 v[0:1], v[0:1], s[0:1]
	v_cvt_f32_f64_e32 v6, v[6:7]
	v_cvt_f32_f64_e32 v7, v[0:1]
	v_mul_f32_e32 v0, v89, v3
	v_fmac_f32_e32 v0, v88, v2
	v_mad_u64_u32 v[4:5], s[2:3], s4, v10, v[4:5]
	v_cvt_f64_f32_e32 v[0:1], v0
	v_add_u32_e32 v5, s5, v5
	v_mul_f64 v[0:1], v[0:1], s[0:1]
	global_store_dwordx2 v[4:5], v[6:7], off
	v_cvt_f32_f64_e32 v6, v[0:1]
	v_mul_f32_e32 v0, v89, v2
	v_fma_f32 v0, v88, v3, -v0
	v_cvt_f64_f32_e32 v[0:1], v0
	v_mul_f64 v[0:1], v[0:1], s[0:1]
	v_cvt_f32_f64_e32 v7, v[0:1]
	ds_read2_b64 v[0:3], v9 offset0:92 offset1:147
	v_mad_u64_u32 v[4:5], s[2:3], s4, v10, v[4:5]
	v_add_u32_e32 v5, s5, v5
	global_store_dwordx2 v[4:5], v[6:7], off
	s_waitcnt lgkmcnt(0)
	v_mul_f32_e32 v6, v95, v1
	v_fmac_f32_e32 v6, v94, v0
	v_mul_f32_e32 v0, v95, v0
	v_fma_f32 v0, v94, v1, -v0
	v_cvt_f64_f32_e32 v[6:7], v6
	v_cvt_f64_f32_e32 v[0:1], v0
	v_mul_f64 v[6:7], v[6:7], s[0:1]
	v_mul_f64 v[0:1], v[0:1], s[0:1]
	v_cvt_f32_f64_e32 v6, v[6:7]
	v_cvt_f32_f64_e32 v7, v[0:1]
	v_mul_f32_e32 v0, v91, v3
	v_fmac_f32_e32 v0, v90, v2
	v_mad_u64_u32 v[4:5], s[2:3], s4, v10, v[4:5]
	v_cvt_f64_f32_e32 v[0:1], v0
	v_add_u32_e32 v5, s5, v5
	v_mul_f64 v[0:1], v[0:1], s[0:1]
	global_store_dwordx2 v[4:5], v[6:7], off
	v_cvt_f32_f64_e32 v6, v[0:1]
	v_mul_f32_e32 v0, v91, v2
	v_fma_f32 v0, v90, v3, -v0
	v_cvt_f64_f32_e32 v[0:1], v0
	v_mul_f64 v[0:1], v[0:1], s[0:1]
	v_cvt_f32_f64_e32 v7, v[0:1]
	ds_read2_b64 v[0:3], v8 offset0:74 offset1:129
	v_mad_u64_u32 v[4:5], s[2:3], s4, v10, v[4:5]
	;; [unrolled: 28-line block ×3, first 2 shown]
	v_add_u32_e32 v5, s5, v5
	global_store_dwordx2 v[4:5], v[6:7], off
	s_waitcnt lgkmcnt(0)
	v_mul_f32_e32 v6, v81, v1
	v_fmac_f32_e32 v6, v80, v0
	v_mul_f32_e32 v0, v81, v0
	v_fma_f32 v0, v80, v1, -v0
	v_cvt_f64_f32_e32 v[6:7], v6
	v_cvt_f64_f32_e32 v[0:1], v0
	v_mul_f64 v[6:7], v[6:7], s[0:1]
	v_mul_f64 v[0:1], v[0:1], s[0:1]
	v_cvt_f32_f64_e32 v6, v[6:7]
	v_cvt_f32_f64_e32 v7, v[0:1]
	v_mad_u64_u32 v[0:1], s[2:3], s4, v10, v[4:5]
	v_mul_f32_e32 v4, v77, v3
	v_fmac_f32_e32 v4, v76, v2
	v_mul_f32_e32 v2, v77, v2
	v_fma_f32 v2, v76, v3, -v2
	v_cvt_f64_f32_e32 v[4:5], v4
	v_cvt_f64_f32_e32 v[2:3], v2
	v_mul_f64 v[4:5], v[4:5], s[0:1]
	v_mul_f64 v[2:3], v[2:3], s[0:1]
	v_cvt_f32_f64_e32 v4, v[4:5]
	v_cvt_f32_f64_e32 v5, v[2:3]
	ds_read_b64 v[2:3], v72 offset:4400
	v_add_u32_e32 v1, s5, v1
	global_store_dwordx2 v[0:1], v[6:7], off
	v_mad_u64_u32 v[0:1], s[2:3], s4, v10, v[0:1]
	v_add_u32_e32 v1, s5, v1
	global_store_dwordx2 v[0:1], v[4:5], off
	s_waitcnt lgkmcnt(0)
	v_mul_f32_e32 v4, v75, v3
	v_fmac_f32_e32 v4, v74, v2
	v_mul_f32_e32 v2, v75, v2
	v_fma_f32 v2, v74, v3, -v2
	v_cvt_f64_f32_e32 v[4:5], v4
	v_cvt_f64_f32_e32 v[2:3], v2
	v_mul_f64 v[4:5], v[4:5], s[0:1]
	v_mul_f64 v[2:3], v[2:3], s[0:1]
	v_mad_u64_u32 v[0:1], s[0:1], s4, v10, v[0:1]
	v_cvt_f32_f64_e32 v4, v[4:5]
	v_cvt_f32_f64_e32 v5, v[2:3]
	v_add_u32_e32 v1, s5, v1
	global_store_dwordx2 v[0:1], v[4:5], off
.LBB0_10:
	s_endpgm
	.section	.rodata,"a",@progbits
	.p2align	6, 0x0
	.amdhsa_kernel bluestein_single_fwd_len605_dim1_sp_op_CI_CI
		.amdhsa_group_segment_fixed_size 4840
		.amdhsa_private_segment_fixed_size 0
		.amdhsa_kernarg_size 104
		.amdhsa_user_sgpr_count 2
		.amdhsa_user_sgpr_dispatch_ptr 0
		.amdhsa_user_sgpr_queue_ptr 0
		.amdhsa_user_sgpr_kernarg_segment_ptr 1
		.amdhsa_user_sgpr_dispatch_id 0
		.amdhsa_user_sgpr_kernarg_preload_length 0
		.amdhsa_user_sgpr_kernarg_preload_offset 0
		.amdhsa_user_sgpr_private_segment_size 0
		.amdhsa_uses_dynamic_stack 0
		.amdhsa_enable_private_segment 0
		.amdhsa_system_sgpr_workgroup_id_x 1
		.amdhsa_system_sgpr_workgroup_id_y 0
		.amdhsa_system_sgpr_workgroup_id_z 0
		.amdhsa_system_sgpr_workgroup_info 0
		.amdhsa_system_vgpr_workitem_id 0
		.amdhsa_next_free_vgpr 226
		.amdhsa_next_free_sgpr 44
		.amdhsa_accum_offset 228
		.amdhsa_reserve_vcc 1
		.amdhsa_float_round_mode_32 0
		.amdhsa_float_round_mode_16_64 0
		.amdhsa_float_denorm_mode_32 3
		.amdhsa_float_denorm_mode_16_64 3
		.amdhsa_dx10_clamp 1
		.amdhsa_ieee_mode 1
		.amdhsa_fp16_overflow 0
		.amdhsa_tg_split 0
		.amdhsa_exception_fp_ieee_invalid_op 0
		.amdhsa_exception_fp_denorm_src 0
		.amdhsa_exception_fp_ieee_div_zero 0
		.amdhsa_exception_fp_ieee_overflow 0
		.amdhsa_exception_fp_ieee_underflow 0
		.amdhsa_exception_fp_ieee_inexact 0
		.amdhsa_exception_int_div_zero 0
	.end_amdhsa_kernel
	.text
.Lfunc_end0:
	.size	bluestein_single_fwd_len605_dim1_sp_op_CI_CI, .Lfunc_end0-bluestein_single_fwd_len605_dim1_sp_op_CI_CI
                                        ; -- End function
	.section	.AMDGPU.csdata,"",@progbits
; Kernel info:
; codeLenInByte = 13576
; NumSgprs: 50
; NumVgprs: 226
; NumAgprs: 0
; TotalNumVgprs: 226
; ScratchSize: 0
; MemoryBound: 0
; FloatMode: 240
; IeeeMode: 1
; LDSByteSize: 4840 bytes/workgroup (compile time only)
; SGPRBlocks: 6
; VGPRBlocks: 28
; NumSGPRsForWavesPerEU: 50
; NumVGPRsForWavesPerEU: 226
; AccumOffset: 228
; Occupancy: 2
; WaveLimiterHint : 1
; COMPUTE_PGM_RSRC2:SCRATCH_EN: 0
; COMPUTE_PGM_RSRC2:USER_SGPR: 2
; COMPUTE_PGM_RSRC2:TRAP_HANDLER: 0
; COMPUTE_PGM_RSRC2:TGID_X_EN: 1
; COMPUTE_PGM_RSRC2:TGID_Y_EN: 0
; COMPUTE_PGM_RSRC2:TGID_Z_EN: 0
; COMPUTE_PGM_RSRC2:TIDIG_COMP_CNT: 0
; COMPUTE_PGM_RSRC3_GFX90A:ACCUM_OFFSET: 56
; COMPUTE_PGM_RSRC3_GFX90A:TG_SPLIT: 0
	.text
	.p2alignl 6, 3212836864
	.fill 256, 4, 3212836864
	.type	__hip_cuid_3209e1574b6f8426,@object ; @__hip_cuid_3209e1574b6f8426
	.section	.bss,"aw",@nobits
	.globl	__hip_cuid_3209e1574b6f8426
__hip_cuid_3209e1574b6f8426:
	.byte	0                               ; 0x0
	.size	__hip_cuid_3209e1574b6f8426, 1

	.ident	"AMD clang version 19.0.0git (https://github.com/RadeonOpenCompute/llvm-project roc-6.4.0 25133 c7fe45cf4b819c5991fe208aaa96edf142730f1d)"
	.section	".note.GNU-stack","",@progbits
	.addrsig
	.addrsig_sym __hip_cuid_3209e1574b6f8426
	.amdgpu_metadata
---
amdhsa.kernels:
  - .agpr_count:     0
    .args:
      - .actual_access:  read_only
        .address_space:  global
        .offset:         0
        .size:           8
        .value_kind:     global_buffer
      - .actual_access:  read_only
        .address_space:  global
        .offset:         8
        .size:           8
        .value_kind:     global_buffer
      - .actual_access:  read_only
        .address_space:  global
        .offset:         16
        .size:           8
        .value_kind:     global_buffer
      - .actual_access:  read_only
        .address_space:  global
        .offset:         24
        .size:           8
        .value_kind:     global_buffer
      - .actual_access:  read_only
        .address_space:  global
        .offset:         32
        .size:           8
        .value_kind:     global_buffer
      - .offset:         40
        .size:           8
        .value_kind:     by_value
      - .address_space:  global
        .offset:         48
        .size:           8
        .value_kind:     global_buffer
      - .address_space:  global
        .offset:         56
        .size:           8
        .value_kind:     global_buffer
      - .address_space:  global
        .offset:         64
        .size:           8
        .value_kind:     global_buffer
      - .address_space:  global
        .offset:         72
        .size:           8
        .value_kind:     global_buffer
      - .offset:         80
        .size:           4
        .value_kind:     by_value
      - .address_space:  global
        .offset:         88
        .size:           8
        .value_kind:     global_buffer
      - .address_space:  global
        .offset:         96
        .size:           8
        .value_kind:     global_buffer
    .group_segment_fixed_size: 4840
    .kernarg_segment_align: 8
    .kernarg_segment_size: 104
    .language:       OpenCL C
    .language_version:
      - 2
      - 0
    .max_flat_workgroup_size: 55
    .name:           bluestein_single_fwd_len605_dim1_sp_op_CI_CI
    .private_segment_fixed_size: 0
    .sgpr_count:     50
    .sgpr_spill_count: 0
    .symbol:         bluestein_single_fwd_len605_dim1_sp_op_CI_CI.kd
    .uniform_work_group_size: 1
    .uses_dynamic_stack: false
    .vgpr_count:     226
    .vgpr_spill_count: 0
    .wavefront_size: 64
amdhsa.target:   amdgcn-amd-amdhsa--gfx950
amdhsa.version:
  - 1
  - 2
...

	.end_amdgpu_metadata
